;; amdgpu-corpus repo=ggml-org/llama.cpp kind=compiled arch=gfx1100 opt=O3
	.text
	.amdgcn_target "amdgcn-amd-amdhsa--gfx1100"
	.amdhsa_code_object_version 6
	.section	.text._ZL19k_bin_bcast_unravelIXadL_ZL9op_repeatffEEfffJEEvPKT0_PKT1_PT2_15HIP_vector_typeIjLj3EES9_S9_jS9_S9_S9_S9_S9_S9_iiiiiiiiiiiDpT3_,"axG",@progbits,_ZL19k_bin_bcast_unravelIXadL_ZL9op_repeatffEEfffJEEvPKT0_PKT1_PT2_15HIP_vector_typeIjLj3EES9_S9_jS9_S9_S9_S9_S9_S9_iiiiiiiiiiiDpT3_,comdat
	.globl	_ZL19k_bin_bcast_unravelIXadL_ZL9op_repeatffEEfffJEEvPKT0_PKT1_PT2_15HIP_vector_typeIjLj3EES9_S9_jS9_S9_S9_S9_S9_S9_iiiiiiiiiiiDpT3_ ; -- Begin function _ZL19k_bin_bcast_unravelIXadL_ZL9op_repeatffEEfffJEEvPKT0_PKT1_PT2_15HIP_vector_typeIjLj3EES9_S9_jS9_S9_S9_S9_S9_S9_iiiiiiiiiiiDpT3_
	.p2align	8
	.type	_ZL19k_bin_bcast_unravelIXadL_ZL9op_repeatffEEfffJEEvPKT0_PKT1_PT2_15HIP_vector_typeIjLj3EES9_S9_jS9_S9_S9_S9_S9_S9_iiiiiiiiiiiDpT3_,@function
_ZL19k_bin_bcast_unravelIXadL_ZL9op_repeatffEEfffJEEvPKT0_PKT1_PT2_15HIP_vector_typeIjLj3EES9_S9_jS9_S9_S9_S9_S9_S9_iiiiiiiiiiiDpT3_: ; @_ZL19k_bin_bcast_unravelIXadL_ZL9op_repeatffEEfffJEEvPKT0_PKT1_PT2_15HIP_vector_typeIjLj3EES9_S9_jS9_S9_S9_S9_S9_S9_iiiiiiiiiiiDpT3_
; %bb.0:
	s_clause 0x1
	s_load_b32 s2, s[0:1], 0xc4
	s_load_b256 s[4:11], s[0:1], 0x38
	s_waitcnt lgkmcnt(0)
	s_and_b32 s2, s2, 0xffff
	s_delay_alu instid0(SALU_CYCLE_1) | instskip(SKIP_3) | instid1(VALU_DEP_1)
	v_mad_u64_u32 v[2:3], null, s15, s2, v[0:1]
	s_clause 0x1
	s_load_b128 s[12:15], s[0:1], 0x18
	s_load_b32 s2, s[0:1], 0x2c
	v_mul_hi_u32 v0, v2, s6
	s_delay_alu instid0(VALU_DEP_1) | instskip(NEXT) | instid1(VALU_DEP_1)
	v_add_nc_u32_e32 v0, v2, v0
	v_lshrrev_b32_e32 v1, s7, v0
	s_delay_alu instid0(VALU_DEP_1) | instskip(NEXT) | instid1(VALU_DEP_1)
	v_mul_lo_u32 v0, v1, s8
	v_sub_nc_u32_e32 v0, v2, v0
	s_delay_alu instid0(VALU_DEP_1) | instskip(NEXT) | instid1(VALU_DEP_1)
	v_mul_hi_u32 v2, v0, s9
	v_add_nc_u32_e32 v2, v0, v2
	s_delay_alu instid0(VALU_DEP_1) | instskip(NEXT) | instid1(VALU_DEP_1)
	v_lshrrev_b32_e32 v2, s10, v2
	v_mul_lo_u32 v3, v2, s11
	v_cmp_gt_u32_e64 s3, s4, v2
	v_cmp_gt_u32_e64 s4, s5, v1
	s_delay_alu instid0(VALU_DEP_3) | instskip(SKIP_1) | instid1(VALU_DEP_1)
	v_sub_nc_u32_e32 v0, v0, v3
	s_waitcnt lgkmcnt(0)
	v_mul_hi_u32 v3, v0, s12
	s_delay_alu instid0(VALU_DEP_1) | instskip(NEXT) | instid1(VALU_DEP_1)
	v_add_nc_u32_e32 v3, v0, v3
	v_lshrrev_b32_e32 v3, s13, v3
	s_delay_alu instid0(VALU_DEP_1) | instskip(SKIP_1) | instid1(VALU_DEP_2)
	v_mul_lo_u32 v4, v3, s14
	v_cmp_gt_u32_e64 s2, s2, v3
	v_sub_nc_u32_e32 v0, v0, v4
	s_delay_alu instid0(VALU_DEP_1) | instskip(NEXT) | instid1(VALU_DEP_3)
	v_cmp_gt_u32_e32 vcc_lo, s14, v0
	s_and_b32 s2, vcc_lo, s2
	s_delay_alu instid0(SALU_CYCLE_1) | instskip(NEXT) | instid1(SALU_CYCLE_1)
	s_and_b32 s2, s2, s3
	s_and_b32 s2, s4, s2
	s_delay_alu instid0(SALU_CYCLE_1)
	s_and_saveexec_b32 s3, s2
	s_cbranch_execz .LBB0_2
; %bb.1:
	s_clause 0x3
	s_load_b256 s[4:11], s[0:1], 0x78
	s_load_b256 s[12:19], s[0:1], 0x58
	s_load_b128 s[20:23], s[0:1], 0xa4
	s_load_b128 s[0:3], s[0:1], 0x8
	s_waitcnt lgkmcnt(0)
	v_mul_hi_u32 v4, s5, v1
	v_mul_hi_u32 v5, s18, v2
	;; [unrolled: 1-line block ×4, first 2 shown]
	s_delay_alu instid0(VALU_DEP_4) | instskip(NEXT) | instid1(VALU_DEP_4)
	v_add_nc_u32_e32 v4, v1, v4
	v_add_nc_u32_e32 v5, v2, v5
	s_delay_alu instid0(VALU_DEP_4) | instskip(NEXT) | instid1(VALU_DEP_4)
	v_add_nc_u32_e32 v6, v3, v6
	v_add_nc_u32_e32 v7, v0, v7
	s_delay_alu instid0(VALU_DEP_4) | instskip(NEXT) | instid1(VALU_DEP_4)
	v_lshrrev_b32_e32 v4, s6, v4
	v_lshrrev_b32_e32 v5, s19, v5
	s_delay_alu instid0(VALU_DEP_4) | instskip(NEXT) | instid1(VALU_DEP_4)
	v_lshrrev_b32_e32 v6, s16, v6
	v_lshrrev_b32_e32 v7, s13, v7
	s_delay_alu instid0(VALU_DEP_4) | instskip(NEXT) | instid1(VALU_DEP_4)
	v_mul_lo_u32 v4, v4, s7
	v_mul_lo_u32 v5, v5, s4
	s_delay_alu instid0(VALU_DEP_4) | instskip(NEXT) | instid1(VALU_DEP_4)
	v_mul_lo_u32 v6, v6, s17
	v_mul_lo_u32 v7, v7, s14
	s_delay_alu instid0(VALU_DEP_4) | instskip(NEXT) | instid1(VALU_DEP_4)
	v_sub_nc_u32_e32 v4, v1, v4
	v_sub_nc_u32_e32 v5, v2, v5
	s_delay_alu instid0(VALU_DEP_4) | instskip(NEXT) | instid1(VALU_DEP_4)
	v_sub_nc_u32_e32 v6, v3, v6
	v_sub_nc_u32_e32 v7, v0, v7
	v_mul_lo_u32 v1, v1, s10
	v_mul_lo_u32 v4, v4, s23
	;; [unrolled: 1-line block ×5, first 2 shown]
	s_delay_alu instid0(VALU_DEP_2) | instskip(SKIP_1) | instid1(VALU_DEP_2)
	v_add3_u32 v4, v5, v4, v6
	v_mul_lo_u32 v6, v7, s20
	v_ashrrev_i32_e32 v5, 31, v4
	s_delay_alu instid0(VALU_DEP_2) | instskip(NEXT) | instid1(VALU_DEP_2)
	v_ashrrev_i32_e32 v7, 31, v6
	v_lshlrev_b64 v[4:5], 2, v[4:5]
	s_delay_alu instid0(VALU_DEP_2) | instskip(NEXT) | instid1(VALU_DEP_2)
	v_lshlrev_b64 v[6:7], 2, v[6:7]
	v_add_co_u32 v4, vcc_lo, s0, v4
	s_delay_alu instid0(VALU_DEP_3) | instskip(NEXT) | instid1(VALU_DEP_2)
	v_add_co_ci_u32_e32 v5, vcc_lo, s1, v5, vcc_lo
	v_add_co_u32 v4, vcc_lo, v4, v6
	s_delay_alu instid0(VALU_DEP_2) | instskip(SKIP_3) | instid1(VALU_DEP_2)
	v_add_co_ci_u32_e32 v5, vcc_lo, v5, v7, vcc_lo
	global_load_b32 v4, v[4:5], off
	v_mul_lo_u32 v5, v3, s8
	v_mov_b32_e32 v3, 0
	v_add3_u32 v2, v2, v1, v5
	s_delay_alu instid0(VALU_DEP_2) | instskip(NEXT) | instid1(VALU_DEP_2)
	v_mov_b32_e32 v1, v3
	v_lshlrev_b64 v[2:3], 2, v[2:3]
	s_delay_alu instid0(VALU_DEP_2) | instskip(NEXT) | instid1(VALU_DEP_2)
	v_lshlrev_b64 v[0:1], 2, v[0:1]
	v_add_co_u32 v2, vcc_lo, s2, v2
	s_delay_alu instid0(VALU_DEP_3) | instskip(NEXT) | instid1(VALU_DEP_2)
	v_add_co_ci_u32_e32 v3, vcc_lo, s3, v3, vcc_lo
	v_add_co_u32 v0, vcc_lo, v2, v0
	s_delay_alu instid0(VALU_DEP_2)
	v_add_co_ci_u32_e32 v1, vcc_lo, v3, v1, vcc_lo
	s_waitcnt vmcnt(0)
	global_store_b32 v[0:1], v4, off
.LBB0_2:
	s_nop 0
	s_sendmsg sendmsg(MSG_DEALLOC_VGPRS)
	s_endpgm
	.section	.rodata,"a",@progbits
	.p2align	6, 0x0
	.amdhsa_kernel _ZL19k_bin_bcast_unravelIXadL_ZL9op_repeatffEEfffJEEvPKT0_PKT1_PT2_15HIP_vector_typeIjLj3EES9_S9_jS9_S9_S9_S9_S9_S9_iiiiiiiiiiiDpT3_
		.amdhsa_group_segment_fixed_size 0
		.amdhsa_private_segment_fixed_size 0
		.amdhsa_kernarg_size 440
		.amdhsa_user_sgpr_count 15
		.amdhsa_user_sgpr_dispatch_ptr 0
		.amdhsa_user_sgpr_queue_ptr 0
		.amdhsa_user_sgpr_kernarg_segment_ptr 1
		.amdhsa_user_sgpr_dispatch_id 0
		.amdhsa_user_sgpr_private_segment_size 0
		.amdhsa_wavefront_size32 1
		.amdhsa_uses_dynamic_stack 0
		.amdhsa_enable_private_segment 0
		.amdhsa_system_sgpr_workgroup_id_x 1
		.amdhsa_system_sgpr_workgroup_id_y 0
		.amdhsa_system_sgpr_workgroup_id_z 0
		.amdhsa_system_sgpr_workgroup_info 0
		.amdhsa_system_vgpr_workitem_id 0
		.amdhsa_next_free_vgpr 8
		.amdhsa_next_free_sgpr 24
		.amdhsa_reserve_vcc 1
		.amdhsa_float_round_mode_32 0
		.amdhsa_float_round_mode_16_64 0
		.amdhsa_float_denorm_mode_32 3
		.amdhsa_float_denorm_mode_16_64 3
		.amdhsa_dx10_clamp 1
		.amdhsa_ieee_mode 1
		.amdhsa_fp16_overflow 0
		.amdhsa_workgroup_processor_mode 1
		.amdhsa_memory_ordered 1
		.amdhsa_forward_progress 0
		.amdhsa_shared_vgpr_count 0
		.amdhsa_exception_fp_ieee_invalid_op 0
		.amdhsa_exception_fp_denorm_src 0
		.amdhsa_exception_fp_ieee_div_zero 0
		.amdhsa_exception_fp_ieee_overflow 0
		.amdhsa_exception_fp_ieee_underflow 0
		.amdhsa_exception_fp_ieee_inexact 0
		.amdhsa_exception_int_div_zero 0
	.end_amdhsa_kernel
	.section	.text._ZL19k_bin_bcast_unravelIXadL_ZL9op_repeatffEEfffJEEvPKT0_PKT1_PT2_15HIP_vector_typeIjLj3EES9_S9_jS9_S9_S9_S9_S9_S9_iiiiiiiiiiiDpT3_,"axG",@progbits,_ZL19k_bin_bcast_unravelIXadL_ZL9op_repeatffEEfffJEEvPKT0_PKT1_PT2_15HIP_vector_typeIjLj3EES9_S9_jS9_S9_S9_S9_S9_S9_iiiiiiiiiiiDpT3_,comdat
.Lfunc_end0:
	.size	_ZL19k_bin_bcast_unravelIXadL_ZL9op_repeatffEEfffJEEvPKT0_PKT1_PT2_15HIP_vector_typeIjLj3EES9_S9_jS9_S9_S9_S9_S9_S9_iiiiiiiiiiiDpT3_, .Lfunc_end0-_ZL19k_bin_bcast_unravelIXadL_ZL9op_repeatffEEfffJEEvPKT0_PKT1_PT2_15HIP_vector_typeIjLj3EES9_S9_jS9_S9_S9_S9_S9_S9_iiiiiiiiiiiDpT3_
                                        ; -- End function
	.section	.AMDGPU.csdata,"",@progbits
; Kernel info:
; codeLenInByte = 660
; NumSgprs: 26
; NumVgprs: 8
; ScratchSize: 0
; MemoryBound: 0
; FloatMode: 240
; IeeeMode: 1
; LDSByteSize: 0 bytes/workgroup (compile time only)
; SGPRBlocks: 3
; VGPRBlocks: 0
; NumSGPRsForWavesPerEU: 26
; NumVGPRsForWavesPerEU: 8
; Occupancy: 16
; WaveLimiterHint : 1
; COMPUTE_PGM_RSRC2:SCRATCH_EN: 0
; COMPUTE_PGM_RSRC2:USER_SGPR: 15
; COMPUTE_PGM_RSRC2:TRAP_HANDLER: 0
; COMPUTE_PGM_RSRC2:TGID_X_EN: 1
; COMPUTE_PGM_RSRC2:TGID_Y_EN: 0
; COMPUTE_PGM_RSRC2:TGID_Z_EN: 0
; COMPUTE_PGM_RSRC2:TIDIG_COMP_CNT: 0
	.section	.text._ZL11k_bin_bcastIXadL_ZL9op_repeatffEEfffJEEvPKT0_PKT1_PT2_iii15HIP_vector_typeIjLj3EES9_S9_S9_S9_iiiiiiiiiiiDpT3_,"axG",@progbits,_ZL11k_bin_bcastIXadL_ZL9op_repeatffEEfffJEEvPKT0_PKT1_PT2_iii15HIP_vector_typeIjLj3EES9_S9_S9_S9_iiiiiiiiiiiDpT3_,comdat
	.globl	_ZL11k_bin_bcastIXadL_ZL9op_repeatffEEfffJEEvPKT0_PKT1_PT2_iii15HIP_vector_typeIjLj3EES9_S9_S9_S9_iiiiiiiiiiiDpT3_ ; -- Begin function _ZL11k_bin_bcastIXadL_ZL9op_repeatffEEfffJEEvPKT0_PKT1_PT2_iii15HIP_vector_typeIjLj3EES9_S9_S9_S9_iiiiiiiiiiiDpT3_
	.p2align	8
	.type	_ZL11k_bin_bcastIXadL_ZL9op_repeatffEEfffJEEvPKT0_PKT1_PT2_iii15HIP_vector_typeIjLj3EES9_S9_S9_S9_iiiiiiiiiiiDpT3_,@function
_ZL11k_bin_bcastIXadL_ZL9op_repeatffEEfffJEEvPKT0_PKT1_PT2_iii15HIP_vector_typeIjLj3EES9_S9_S9_S9_iiiiiiiiiiiDpT3_: ; @_ZL11k_bin_bcastIXadL_ZL9op_repeatffEEfffJEEvPKT0_PKT1_PT2_iii15HIP_vector_typeIjLj3EES9_S9_S9_S9_iiiiiiiiiiiDpT3_
; %bb.0:
	s_clause 0x1
	s_load_b64 s[2:3], s[0:1], 0x9c
	s_load_b256 s[16:23], s[0:1], 0x18
	v_bfe_u32 v1, v0, 20, 10
	s_add_u32 s8, s0, 0x90
	s_addc_u32 s9, s1, 0
	s_waitcnt lgkmcnt(0)
	s_and_b32 s3, s3, 0xffff
	s_and_b32 s10, s2, 0xffff
	v_mad_u64_u32 v[4:5], null, s15, s3, v[1:2]
	v_and_b32_e32 v2, 0x3ff, v0
	v_bfe_u32 v5, v0, 10, 10
	s_lshr_b32 s3, s2, 16
	s_delay_alu instid0(VALU_DEP_3) | instskip(NEXT) | instid1(VALU_DEP_1)
	v_mul_hi_u32 v1, v4, s19
	v_add_nc_u32_e32 v1, v4, v1
	s_delay_alu instid0(VALU_DEP_1) | instskip(NEXT) | instid1(VALU_DEP_1)
	v_lshrrev_b32_e32 v3, s20, v1
	v_mul_lo_u32 v6, v3, s21
	v_mad_u64_u32 v[0:1], null, s13, s10, v[2:3]
	s_delay_alu instid0(VALU_DEP_2) | instskip(SKIP_1) | instid1(VALU_DEP_3)
	v_mad_u64_u32 v[1:2], null, s14, s3, v[5:6]
	v_sub_nc_u32_e32 v2, v4, v6
	v_cmp_gt_u32_e32 vcc_lo, s16, v0
	v_cmp_gt_u32_e64 s3, s18, v3
	s_delay_alu instid0(VALU_DEP_3) | instskip(SKIP_1) | instid1(VALU_DEP_1)
	v_cmp_gt_u32_e64 s4, s21, v2
	v_cmp_gt_u32_e64 s2, s17, v1
	s_and_b32 s2, vcc_lo, s2
	s_delay_alu instid0(VALU_DEP_3) | instid1(SALU_CYCLE_1)
	s_and_b32 s2, s2, s3
	s_delay_alu instid0(VALU_DEP_2) | instid1(SALU_CYCLE_1)
	s_and_b32 s2, s2, s4
	s_delay_alu instid0(SALU_CYCLE_1)
	s_and_saveexec_b32 s3, s2
	s_cbranch_execz .LBB1_4
; %bb.1:
	v_cmp_gt_i32_e32 vcc_lo, s16, v0
	s_and_b32 exec_lo, exec_lo, vcc_lo
	s_cbranch_execz .LBB1_4
; %bb.2:
	s_clause 0x3
	s_load_b256 s[24:31], s[0:1], 0x3c
	s_load_b32 s2, s[0:1], 0x5c
	s_load_b128 s[12:15], s[0:1], 0x60
	s_load_b128 s[4:7], s[0:1], 0x7c
	s_waitcnt lgkmcnt(0)
	v_mul_hi_u32 v4, s27, v3
	v_mul_hi_u32 v5, s30, v2
	v_mul_hi_u32 v6, s24, v1
	s_delay_alu instid0(VALU_DEP_3) | instskip(NEXT) | instid1(VALU_DEP_3)
	v_add_nc_u32_e32 v4, v3, v4
	v_add_nc_u32_e32 v5, v2, v5
	s_delay_alu instid0(VALU_DEP_3) | instskip(NEXT) | instid1(VALU_DEP_3)
	v_add_nc_u32_e32 v6, v1, v6
	v_lshrrev_b32_e32 v4, s28, v4
	s_delay_alu instid0(VALU_DEP_3) | instskip(NEXT) | instid1(VALU_DEP_3)
	v_lshrrev_b32_e32 v5, s31, v5
	v_lshrrev_b32_e32 v6, s25, v6
	s_delay_alu instid0(VALU_DEP_3) | instskip(NEXT) | instid1(VALU_DEP_3)
	v_mul_lo_u32 v4, v4, s29
	v_mul_lo_u32 v5, v5, s2
	s_delay_alu instid0(VALU_DEP_3)
	v_mul_lo_u32 v6, v6, s26
	s_load_b128 s[24:27], s[0:1], 0x8
	v_mul_lo_u32 v7, v2, s14
	v_mul_lo_u32 v8, v3, s13
	;; [unrolled: 1-line block ×3, first 2 shown]
	s_load_b32 s2, s[8:9], 0x0
	s_load_b32 s0, s[0:1], 0x38
	v_sub_nc_u32_e32 v3, v3, v4
	v_sub_nc_u32_e32 v2, v2, v5
	;; [unrolled: 1-line block ×3, first 2 shown]
	s_mov_b32 s1, 0
	s_delay_alu instid0(VALU_DEP_3) | instskip(NEXT) | instid1(VALU_DEP_3)
	v_mul_lo_u32 v5, v3, s6
	v_mul_lo_u32 v6, v2, s7
	v_mov_b32_e32 v2, 0
	v_mul_lo_u32 v10, v1, s5
	v_add3_u32 v1, v8, v9, v7
	s_delay_alu instid0(VALU_DEP_1) | instskip(NEXT) | instid1(VALU_DEP_3)
	v_lshlrev_b64 v[3:4], 2, v[1:2]
	v_add3_u32 v1, v5, v6, v10
	s_waitcnt lgkmcnt(0)
	s_mul_i32 s2, s2, s10
	s_sub_i32 s3, 0, s0
	s_delay_alu instid0(VALU_DEP_2) | instskip(SKIP_2) | instid1(VALU_DEP_2)
	v_add_co_u32 v3, vcc_lo, s26, v3
	v_lshlrev_b64 v[5:6], 2, v[1:2]
	v_add_co_ci_u32_e32 v4, vcc_lo, s27, v4, vcc_lo
	v_add_co_u32 v5, vcc_lo, s24, v5
	s_delay_alu instid0(VALU_DEP_3)
	v_add_co_ci_u32_e32 v6, vcc_lo, s25, v6, vcc_lo
	.p2align	6
.LBB1_3:                                ; =>This Inner Loop Header: Depth=1
	v_mul_hi_u32 v1, s22, v0
	s_delay_alu instid0(VALU_DEP_1) | instskip(NEXT) | instid1(VALU_DEP_1)
	v_add_nc_u32_e32 v1, v0, v1
	v_lshrrev_b32_e32 v1, s23, v1
	s_delay_alu instid0(VALU_DEP_1) | instskip(NEXT) | instid1(VALU_DEP_1)
	v_mad_u64_u32 v[7:8], null, s3, v1, v[0:1]
	v_mul_lo_u32 v1, v7, s4
	s_delay_alu instid0(VALU_DEP_1) | instskip(SKIP_1) | instid1(VALU_DEP_2)
	v_lshlrev_b64 v[7:8], 2, v[1:2]
	v_ashrrev_i32_e32 v1, 31, v0
	v_add_co_u32 v7, vcc_lo, v5, v7
	s_delay_alu instid0(VALU_DEP_3) | instskip(SKIP_3) | instid1(VALU_DEP_1)
	v_add_co_ci_u32_e32 v8, vcc_lo, v6, v8, vcc_lo
	global_load_b32 v9, v[7:8], off
	v_lshlrev_b64 v[7:8], 2, v[0:1]
	v_add_nc_u32_e32 v0, s2, v0
	v_cmp_le_i32_e32 vcc_lo, s16, v0
	s_delay_alu instid0(VALU_DEP_3) | instskip(NEXT) | instid1(VALU_DEP_1)
	v_add_co_u32 v7, s0, v3, v7
	v_add_co_ci_u32_e64 v8, s0, v4, v8, s0
	s_or_b32 s1, vcc_lo, s1
	s_waitcnt vmcnt(0)
	global_store_b32 v[7:8], v9, off
	s_and_not1_b32 exec_lo, exec_lo, s1
	s_cbranch_execnz .LBB1_3
.LBB1_4:
	s_nop 0
	s_sendmsg sendmsg(MSG_DEALLOC_VGPRS)
	s_endpgm
	.section	.rodata,"a",@progbits
	.p2align	6, 0x0
	.amdhsa_kernel _ZL11k_bin_bcastIXadL_ZL9op_repeatffEEfffJEEvPKT0_PKT1_PT2_iii15HIP_vector_typeIjLj3EES9_S9_S9_S9_iiiiiiiiiiiDpT3_
		.amdhsa_group_segment_fixed_size 0
		.amdhsa_private_segment_fixed_size 0
		.amdhsa_kernarg_size 400
		.amdhsa_user_sgpr_count 13
		.amdhsa_user_sgpr_dispatch_ptr 0
		.amdhsa_user_sgpr_queue_ptr 0
		.amdhsa_user_sgpr_kernarg_segment_ptr 1
		.amdhsa_user_sgpr_dispatch_id 0
		.amdhsa_user_sgpr_private_segment_size 0
		.amdhsa_wavefront_size32 1
		.amdhsa_uses_dynamic_stack 0
		.amdhsa_enable_private_segment 0
		.amdhsa_system_sgpr_workgroup_id_x 1
		.amdhsa_system_sgpr_workgroup_id_y 1
		.amdhsa_system_sgpr_workgroup_id_z 1
		.amdhsa_system_sgpr_workgroup_info 0
		.amdhsa_system_vgpr_workitem_id 2
		.amdhsa_next_free_vgpr 11
		.amdhsa_next_free_sgpr 32
		.amdhsa_reserve_vcc 1
		.amdhsa_float_round_mode_32 0
		.amdhsa_float_round_mode_16_64 0
		.amdhsa_float_denorm_mode_32 3
		.amdhsa_float_denorm_mode_16_64 3
		.amdhsa_dx10_clamp 1
		.amdhsa_ieee_mode 1
		.amdhsa_fp16_overflow 0
		.amdhsa_workgroup_processor_mode 1
		.amdhsa_memory_ordered 1
		.amdhsa_forward_progress 0
		.amdhsa_shared_vgpr_count 0
		.amdhsa_exception_fp_ieee_invalid_op 0
		.amdhsa_exception_fp_denorm_src 0
		.amdhsa_exception_fp_ieee_div_zero 0
		.amdhsa_exception_fp_ieee_overflow 0
		.amdhsa_exception_fp_ieee_underflow 0
		.amdhsa_exception_fp_ieee_inexact 0
		.amdhsa_exception_int_div_zero 0
	.end_amdhsa_kernel
	.section	.text._ZL11k_bin_bcastIXadL_ZL9op_repeatffEEfffJEEvPKT0_PKT1_PT2_iii15HIP_vector_typeIjLj3EES9_S9_S9_S9_iiiiiiiiiiiDpT3_,"axG",@progbits,_ZL11k_bin_bcastIXadL_ZL9op_repeatffEEfffJEEvPKT0_PKT1_PT2_iii15HIP_vector_typeIjLj3EES9_S9_S9_S9_iiiiiiiiiiiDpT3_,comdat
.Lfunc_end1:
	.size	_ZL11k_bin_bcastIXadL_ZL9op_repeatffEEfffJEEvPKT0_PKT1_PT2_iii15HIP_vector_typeIjLj3EES9_S9_S9_S9_iiiiiiiiiiiDpT3_, .Lfunc_end1-_ZL11k_bin_bcastIXadL_ZL9op_repeatffEEfffJEEvPKT0_PKT1_PT2_iii15HIP_vector_typeIjLj3EES9_S9_S9_S9_iiiiiiiiiiiDpT3_
                                        ; -- End function
	.section	.AMDGPU.csdata,"",@progbits
; Kernel info:
; codeLenInByte = 680
; NumSgprs: 34
; NumVgprs: 11
; ScratchSize: 0
; MemoryBound: 0
; FloatMode: 240
; IeeeMode: 1
; LDSByteSize: 0 bytes/workgroup (compile time only)
; SGPRBlocks: 4
; VGPRBlocks: 1
; NumSGPRsForWavesPerEU: 34
; NumVGPRsForWavesPerEU: 11
; Occupancy: 16
; WaveLimiterHint : 1
; COMPUTE_PGM_RSRC2:SCRATCH_EN: 0
; COMPUTE_PGM_RSRC2:USER_SGPR: 13
; COMPUTE_PGM_RSRC2:TRAP_HANDLER: 0
; COMPUTE_PGM_RSRC2:TGID_X_EN: 1
; COMPUTE_PGM_RSRC2:TGID_Y_EN: 1
; COMPUTE_PGM_RSRC2:TGID_Z_EN: 1
; COMPUTE_PGM_RSRC2:TIDIG_COMP_CNT: 2
	.section	.text._ZL19k_bin_bcast_unravelIXadL_ZL9op_repeatffEE6__halfS0_S0_JEEvPKT0_PKT1_PT2_15HIP_vector_typeIjLj3EESA_SA_jSA_SA_SA_SA_SA_SA_iiiiiiiiiiiDpT3_,"axG",@progbits,_ZL19k_bin_bcast_unravelIXadL_ZL9op_repeatffEE6__halfS0_S0_JEEvPKT0_PKT1_PT2_15HIP_vector_typeIjLj3EESA_SA_jSA_SA_SA_SA_SA_SA_iiiiiiiiiiiDpT3_,comdat
	.globl	_ZL19k_bin_bcast_unravelIXadL_ZL9op_repeatffEE6__halfS0_S0_JEEvPKT0_PKT1_PT2_15HIP_vector_typeIjLj3EESA_SA_jSA_SA_SA_SA_SA_SA_iiiiiiiiiiiDpT3_ ; -- Begin function _ZL19k_bin_bcast_unravelIXadL_ZL9op_repeatffEE6__halfS0_S0_JEEvPKT0_PKT1_PT2_15HIP_vector_typeIjLj3EESA_SA_jSA_SA_SA_SA_SA_SA_iiiiiiiiiiiDpT3_
	.p2align	8
	.type	_ZL19k_bin_bcast_unravelIXadL_ZL9op_repeatffEE6__halfS0_S0_JEEvPKT0_PKT1_PT2_15HIP_vector_typeIjLj3EESA_SA_jSA_SA_SA_SA_SA_SA_iiiiiiiiiiiDpT3_,@function
_ZL19k_bin_bcast_unravelIXadL_ZL9op_repeatffEE6__halfS0_S0_JEEvPKT0_PKT1_PT2_15HIP_vector_typeIjLj3EESA_SA_jSA_SA_SA_SA_SA_SA_iiiiiiiiiiiDpT3_: ; @_ZL19k_bin_bcast_unravelIXadL_ZL9op_repeatffEE6__halfS0_S0_JEEvPKT0_PKT1_PT2_15HIP_vector_typeIjLj3EESA_SA_jSA_SA_SA_SA_SA_SA_iiiiiiiiiiiDpT3_
; %bb.0:
	s_clause 0x1
	s_load_b32 s2, s[0:1], 0xc4
	s_load_b256 s[4:11], s[0:1], 0x38
	s_waitcnt lgkmcnt(0)
	s_and_b32 s2, s2, 0xffff
	s_delay_alu instid0(SALU_CYCLE_1) | instskip(SKIP_3) | instid1(VALU_DEP_1)
	v_mad_u64_u32 v[2:3], null, s15, s2, v[0:1]
	s_clause 0x1
	s_load_b128 s[12:15], s[0:1], 0x18
	s_load_b32 s2, s[0:1], 0x2c
	v_mul_hi_u32 v0, v2, s6
	s_delay_alu instid0(VALU_DEP_1) | instskip(NEXT) | instid1(VALU_DEP_1)
	v_add_nc_u32_e32 v0, v2, v0
	v_lshrrev_b32_e32 v1, s7, v0
	s_delay_alu instid0(VALU_DEP_1) | instskip(NEXT) | instid1(VALU_DEP_1)
	v_mul_lo_u32 v0, v1, s8
	v_sub_nc_u32_e32 v0, v2, v0
	s_delay_alu instid0(VALU_DEP_1) | instskip(NEXT) | instid1(VALU_DEP_1)
	v_mul_hi_u32 v2, v0, s9
	v_add_nc_u32_e32 v2, v0, v2
	s_delay_alu instid0(VALU_DEP_1) | instskip(NEXT) | instid1(VALU_DEP_1)
	v_lshrrev_b32_e32 v2, s10, v2
	v_mul_lo_u32 v3, v2, s11
	v_cmp_gt_u32_e64 s3, s4, v2
	v_cmp_gt_u32_e64 s4, s5, v1
	s_delay_alu instid0(VALU_DEP_3) | instskip(SKIP_1) | instid1(VALU_DEP_1)
	v_sub_nc_u32_e32 v0, v0, v3
	s_waitcnt lgkmcnt(0)
	v_mul_hi_u32 v3, v0, s12
	s_delay_alu instid0(VALU_DEP_1) | instskip(NEXT) | instid1(VALU_DEP_1)
	v_add_nc_u32_e32 v3, v0, v3
	v_lshrrev_b32_e32 v3, s13, v3
	s_delay_alu instid0(VALU_DEP_1) | instskip(SKIP_1) | instid1(VALU_DEP_2)
	v_mul_lo_u32 v4, v3, s14
	v_cmp_gt_u32_e64 s2, s2, v3
	v_sub_nc_u32_e32 v0, v0, v4
	s_delay_alu instid0(VALU_DEP_1) | instskip(NEXT) | instid1(VALU_DEP_3)
	v_cmp_gt_u32_e32 vcc_lo, s14, v0
	s_and_b32 s2, vcc_lo, s2
	s_delay_alu instid0(SALU_CYCLE_1) | instskip(NEXT) | instid1(SALU_CYCLE_1)
	s_and_b32 s2, s2, s3
	s_and_b32 s2, s4, s2
	s_delay_alu instid0(SALU_CYCLE_1)
	s_and_saveexec_b32 s3, s2
	s_cbranch_execz .LBB2_2
; %bb.1:
	s_clause 0x3
	s_load_b256 s[4:11], s[0:1], 0x78
	s_load_b256 s[12:19], s[0:1], 0x58
	s_load_b128 s[20:23], s[0:1], 0xa4
	s_load_b128 s[0:3], s[0:1], 0x8
	s_waitcnt lgkmcnt(0)
	v_mul_hi_u32 v4, s5, v1
	v_mul_hi_u32 v5, s18, v2
	;; [unrolled: 1-line block ×4, first 2 shown]
	s_delay_alu instid0(VALU_DEP_4) | instskip(NEXT) | instid1(VALU_DEP_4)
	v_add_nc_u32_e32 v4, v1, v4
	v_add_nc_u32_e32 v5, v2, v5
	s_delay_alu instid0(VALU_DEP_4) | instskip(NEXT) | instid1(VALU_DEP_4)
	v_add_nc_u32_e32 v6, v3, v6
	v_add_nc_u32_e32 v7, v0, v7
	s_delay_alu instid0(VALU_DEP_4) | instskip(NEXT) | instid1(VALU_DEP_4)
	v_lshrrev_b32_e32 v4, s6, v4
	v_lshrrev_b32_e32 v5, s19, v5
	s_delay_alu instid0(VALU_DEP_4) | instskip(NEXT) | instid1(VALU_DEP_4)
	v_lshrrev_b32_e32 v6, s16, v6
	v_lshrrev_b32_e32 v7, s13, v7
	s_delay_alu instid0(VALU_DEP_4) | instskip(NEXT) | instid1(VALU_DEP_4)
	v_mul_lo_u32 v4, v4, s7
	v_mul_lo_u32 v5, v5, s4
	s_delay_alu instid0(VALU_DEP_4) | instskip(NEXT) | instid1(VALU_DEP_4)
	v_mul_lo_u32 v6, v6, s17
	v_mul_lo_u32 v7, v7, s14
	s_delay_alu instid0(VALU_DEP_4) | instskip(NEXT) | instid1(VALU_DEP_4)
	v_sub_nc_u32_e32 v4, v1, v4
	v_sub_nc_u32_e32 v5, v2, v5
	s_delay_alu instid0(VALU_DEP_4) | instskip(NEXT) | instid1(VALU_DEP_4)
	v_sub_nc_u32_e32 v6, v3, v6
	v_sub_nc_u32_e32 v7, v0, v7
	v_mul_lo_u32 v1, v1, s10
	v_mul_lo_u32 v4, v4, s23
	;; [unrolled: 1-line block ×5, first 2 shown]
	s_delay_alu instid0(VALU_DEP_2) | instskip(SKIP_1) | instid1(VALU_DEP_2)
	v_add3_u32 v4, v5, v4, v6
	v_mul_lo_u32 v6, v7, s20
	v_ashrrev_i32_e32 v5, 31, v4
	s_delay_alu instid0(VALU_DEP_2) | instskip(NEXT) | instid1(VALU_DEP_2)
	v_ashrrev_i32_e32 v7, 31, v6
	v_lshlrev_b64 v[4:5], 1, v[4:5]
	s_delay_alu instid0(VALU_DEP_2) | instskip(NEXT) | instid1(VALU_DEP_2)
	v_lshlrev_b64 v[6:7], 1, v[6:7]
	v_add_co_u32 v4, vcc_lo, s0, v4
	s_delay_alu instid0(VALU_DEP_3) | instskip(NEXT) | instid1(VALU_DEP_2)
	v_add_co_ci_u32_e32 v5, vcc_lo, s1, v5, vcc_lo
	v_add_co_u32 v4, vcc_lo, v4, v6
	s_delay_alu instid0(VALU_DEP_2) | instskip(SKIP_3) | instid1(VALU_DEP_2)
	v_add_co_ci_u32_e32 v5, vcc_lo, v5, v7, vcc_lo
	global_load_u16 v4, v[4:5], off
	v_mul_lo_u32 v5, v3, s8
	v_mov_b32_e32 v3, 0
	v_add3_u32 v2, v2, v1, v5
	s_delay_alu instid0(VALU_DEP_2) | instskip(NEXT) | instid1(VALU_DEP_2)
	v_mov_b32_e32 v1, v3
	v_lshlrev_b64 v[2:3], 1, v[2:3]
	s_delay_alu instid0(VALU_DEP_2) | instskip(NEXT) | instid1(VALU_DEP_2)
	v_lshlrev_b64 v[0:1], 1, v[0:1]
	v_add_co_u32 v2, vcc_lo, s2, v2
	s_delay_alu instid0(VALU_DEP_3) | instskip(NEXT) | instid1(VALU_DEP_2)
	v_add_co_ci_u32_e32 v3, vcc_lo, s3, v3, vcc_lo
	v_add_co_u32 v0, vcc_lo, v2, v0
	s_delay_alu instid0(VALU_DEP_2)
	v_add_co_ci_u32_e32 v1, vcc_lo, v3, v1, vcc_lo
	s_waitcnt vmcnt(0)
	global_store_b16 v[0:1], v4, off
.LBB2_2:
	s_nop 0
	s_sendmsg sendmsg(MSG_DEALLOC_VGPRS)
	s_endpgm
	.section	.rodata,"a",@progbits
	.p2align	6, 0x0
	.amdhsa_kernel _ZL19k_bin_bcast_unravelIXadL_ZL9op_repeatffEE6__halfS0_S0_JEEvPKT0_PKT1_PT2_15HIP_vector_typeIjLj3EESA_SA_jSA_SA_SA_SA_SA_SA_iiiiiiiiiiiDpT3_
		.amdhsa_group_segment_fixed_size 0
		.amdhsa_private_segment_fixed_size 0
		.amdhsa_kernarg_size 440
		.amdhsa_user_sgpr_count 15
		.amdhsa_user_sgpr_dispatch_ptr 0
		.amdhsa_user_sgpr_queue_ptr 0
		.amdhsa_user_sgpr_kernarg_segment_ptr 1
		.amdhsa_user_sgpr_dispatch_id 0
		.amdhsa_user_sgpr_private_segment_size 0
		.amdhsa_wavefront_size32 1
		.amdhsa_uses_dynamic_stack 0
		.amdhsa_enable_private_segment 0
		.amdhsa_system_sgpr_workgroup_id_x 1
		.amdhsa_system_sgpr_workgroup_id_y 0
		.amdhsa_system_sgpr_workgroup_id_z 0
		.amdhsa_system_sgpr_workgroup_info 0
		.amdhsa_system_vgpr_workitem_id 0
		.amdhsa_next_free_vgpr 8
		.amdhsa_next_free_sgpr 24
		.amdhsa_reserve_vcc 1
		.amdhsa_float_round_mode_32 0
		.amdhsa_float_round_mode_16_64 0
		.amdhsa_float_denorm_mode_32 3
		.amdhsa_float_denorm_mode_16_64 3
		.amdhsa_dx10_clamp 1
		.amdhsa_ieee_mode 1
		.amdhsa_fp16_overflow 0
		.amdhsa_workgroup_processor_mode 1
		.amdhsa_memory_ordered 1
		.amdhsa_forward_progress 0
		.amdhsa_shared_vgpr_count 0
		.amdhsa_exception_fp_ieee_invalid_op 0
		.amdhsa_exception_fp_denorm_src 0
		.amdhsa_exception_fp_ieee_div_zero 0
		.amdhsa_exception_fp_ieee_overflow 0
		.amdhsa_exception_fp_ieee_underflow 0
		.amdhsa_exception_fp_ieee_inexact 0
		.amdhsa_exception_int_div_zero 0
	.end_amdhsa_kernel
	.section	.text._ZL19k_bin_bcast_unravelIXadL_ZL9op_repeatffEE6__halfS0_S0_JEEvPKT0_PKT1_PT2_15HIP_vector_typeIjLj3EESA_SA_jSA_SA_SA_SA_SA_SA_iiiiiiiiiiiDpT3_,"axG",@progbits,_ZL19k_bin_bcast_unravelIXadL_ZL9op_repeatffEE6__halfS0_S0_JEEvPKT0_PKT1_PT2_15HIP_vector_typeIjLj3EESA_SA_jSA_SA_SA_SA_SA_SA_iiiiiiiiiiiDpT3_,comdat
.Lfunc_end2:
	.size	_ZL19k_bin_bcast_unravelIXadL_ZL9op_repeatffEE6__halfS0_S0_JEEvPKT0_PKT1_PT2_15HIP_vector_typeIjLj3EESA_SA_jSA_SA_SA_SA_SA_SA_iiiiiiiiiiiDpT3_, .Lfunc_end2-_ZL19k_bin_bcast_unravelIXadL_ZL9op_repeatffEE6__halfS0_S0_JEEvPKT0_PKT1_PT2_15HIP_vector_typeIjLj3EESA_SA_jSA_SA_SA_SA_SA_SA_iiiiiiiiiiiDpT3_
                                        ; -- End function
	.section	.AMDGPU.csdata,"",@progbits
; Kernel info:
; codeLenInByte = 660
; NumSgprs: 26
; NumVgprs: 8
; ScratchSize: 0
; MemoryBound: 0
; FloatMode: 240
; IeeeMode: 1
; LDSByteSize: 0 bytes/workgroup (compile time only)
; SGPRBlocks: 3
; VGPRBlocks: 0
; NumSGPRsForWavesPerEU: 26
; NumVGPRsForWavesPerEU: 8
; Occupancy: 16
; WaveLimiterHint : 1
; COMPUTE_PGM_RSRC2:SCRATCH_EN: 0
; COMPUTE_PGM_RSRC2:USER_SGPR: 15
; COMPUTE_PGM_RSRC2:TRAP_HANDLER: 0
; COMPUTE_PGM_RSRC2:TGID_X_EN: 1
; COMPUTE_PGM_RSRC2:TGID_Y_EN: 0
; COMPUTE_PGM_RSRC2:TGID_Z_EN: 0
; COMPUTE_PGM_RSRC2:TIDIG_COMP_CNT: 0
	.section	.text._ZL11k_bin_bcastIXadL_ZL9op_repeatffEE6__halfS0_S0_JEEvPKT0_PKT1_PT2_iii15HIP_vector_typeIjLj3EESA_SA_SA_SA_iiiiiiiiiiiDpT3_,"axG",@progbits,_ZL11k_bin_bcastIXadL_ZL9op_repeatffEE6__halfS0_S0_JEEvPKT0_PKT1_PT2_iii15HIP_vector_typeIjLj3EESA_SA_SA_SA_iiiiiiiiiiiDpT3_,comdat
	.globl	_ZL11k_bin_bcastIXadL_ZL9op_repeatffEE6__halfS0_S0_JEEvPKT0_PKT1_PT2_iii15HIP_vector_typeIjLj3EESA_SA_SA_SA_iiiiiiiiiiiDpT3_ ; -- Begin function _ZL11k_bin_bcastIXadL_ZL9op_repeatffEE6__halfS0_S0_JEEvPKT0_PKT1_PT2_iii15HIP_vector_typeIjLj3EESA_SA_SA_SA_iiiiiiiiiiiDpT3_
	.p2align	8
	.type	_ZL11k_bin_bcastIXadL_ZL9op_repeatffEE6__halfS0_S0_JEEvPKT0_PKT1_PT2_iii15HIP_vector_typeIjLj3EESA_SA_SA_SA_iiiiiiiiiiiDpT3_,@function
_ZL11k_bin_bcastIXadL_ZL9op_repeatffEE6__halfS0_S0_JEEvPKT0_PKT1_PT2_iii15HIP_vector_typeIjLj3EESA_SA_SA_SA_iiiiiiiiiiiDpT3_: ; @_ZL11k_bin_bcastIXadL_ZL9op_repeatffEE6__halfS0_S0_JEEvPKT0_PKT1_PT2_iii15HIP_vector_typeIjLj3EESA_SA_SA_SA_iiiiiiiiiiiDpT3_
; %bb.0:
	s_clause 0x1
	s_load_b64 s[2:3], s[0:1], 0x9c
	s_load_b256 s[16:23], s[0:1], 0x18
	v_bfe_u32 v1, v0, 20, 10
	s_add_u32 s8, s0, 0x90
	s_addc_u32 s9, s1, 0
	s_waitcnt lgkmcnt(0)
	s_and_b32 s3, s3, 0xffff
	s_and_b32 s10, s2, 0xffff
	v_mad_u64_u32 v[4:5], null, s15, s3, v[1:2]
	v_and_b32_e32 v2, 0x3ff, v0
	v_bfe_u32 v5, v0, 10, 10
	s_lshr_b32 s3, s2, 16
	s_delay_alu instid0(VALU_DEP_3) | instskip(NEXT) | instid1(VALU_DEP_1)
	v_mul_hi_u32 v1, v4, s19
	v_add_nc_u32_e32 v1, v4, v1
	s_delay_alu instid0(VALU_DEP_1) | instskip(NEXT) | instid1(VALU_DEP_1)
	v_lshrrev_b32_e32 v3, s20, v1
	v_mul_lo_u32 v6, v3, s21
	v_mad_u64_u32 v[0:1], null, s13, s10, v[2:3]
	s_delay_alu instid0(VALU_DEP_2) | instskip(SKIP_1) | instid1(VALU_DEP_3)
	v_mad_u64_u32 v[1:2], null, s14, s3, v[5:6]
	v_sub_nc_u32_e32 v2, v4, v6
	v_cmp_gt_u32_e32 vcc_lo, s16, v0
	v_cmp_gt_u32_e64 s3, s18, v3
	s_delay_alu instid0(VALU_DEP_3) | instskip(SKIP_1) | instid1(VALU_DEP_1)
	v_cmp_gt_u32_e64 s4, s21, v2
	v_cmp_gt_u32_e64 s2, s17, v1
	s_and_b32 s2, vcc_lo, s2
	s_delay_alu instid0(VALU_DEP_3) | instid1(SALU_CYCLE_1)
	s_and_b32 s2, s2, s3
	s_delay_alu instid0(VALU_DEP_2) | instid1(SALU_CYCLE_1)
	s_and_b32 s2, s2, s4
	s_delay_alu instid0(SALU_CYCLE_1)
	s_and_saveexec_b32 s3, s2
	s_cbranch_execz .LBB3_4
; %bb.1:
	v_cmp_gt_i32_e32 vcc_lo, s16, v0
	s_and_b32 exec_lo, exec_lo, vcc_lo
	s_cbranch_execz .LBB3_4
; %bb.2:
	s_clause 0x3
	s_load_b256 s[24:31], s[0:1], 0x3c
	s_load_b32 s2, s[0:1], 0x5c
	s_load_b128 s[12:15], s[0:1], 0x60
	s_load_b128 s[4:7], s[0:1], 0x7c
	s_waitcnt lgkmcnt(0)
	v_mul_hi_u32 v4, s27, v3
	v_mul_hi_u32 v5, s30, v2
	;; [unrolled: 1-line block ×3, first 2 shown]
	s_delay_alu instid0(VALU_DEP_3) | instskip(NEXT) | instid1(VALU_DEP_3)
	v_add_nc_u32_e32 v4, v3, v4
	v_add_nc_u32_e32 v5, v2, v5
	s_delay_alu instid0(VALU_DEP_3) | instskip(NEXT) | instid1(VALU_DEP_3)
	v_add_nc_u32_e32 v6, v1, v6
	v_lshrrev_b32_e32 v4, s28, v4
	s_delay_alu instid0(VALU_DEP_3) | instskip(NEXT) | instid1(VALU_DEP_3)
	v_lshrrev_b32_e32 v5, s31, v5
	v_lshrrev_b32_e32 v6, s25, v6
	s_delay_alu instid0(VALU_DEP_3) | instskip(NEXT) | instid1(VALU_DEP_3)
	v_mul_lo_u32 v4, v4, s29
	v_mul_lo_u32 v5, v5, s2
	s_delay_alu instid0(VALU_DEP_3)
	v_mul_lo_u32 v6, v6, s26
	s_load_b128 s[24:27], s[0:1], 0x8
	v_mul_lo_u32 v7, v2, s14
	v_mul_lo_u32 v8, v3, s13
	;; [unrolled: 1-line block ×3, first 2 shown]
	s_load_b32 s2, s[8:9], 0x0
	s_load_b32 s0, s[0:1], 0x38
	v_sub_nc_u32_e32 v3, v3, v4
	v_sub_nc_u32_e32 v2, v2, v5
	;; [unrolled: 1-line block ×3, first 2 shown]
	s_mov_b32 s1, 0
	s_delay_alu instid0(VALU_DEP_3) | instskip(NEXT) | instid1(VALU_DEP_3)
	v_mul_lo_u32 v5, v3, s6
	v_mul_lo_u32 v6, v2, s7
	v_mov_b32_e32 v2, 0
	v_mul_lo_u32 v10, v1, s5
	v_add3_u32 v1, v8, v9, v7
	s_delay_alu instid0(VALU_DEP_1) | instskip(NEXT) | instid1(VALU_DEP_3)
	v_lshlrev_b64 v[3:4], 1, v[1:2]
	v_add3_u32 v1, v5, v6, v10
	s_waitcnt lgkmcnt(0)
	s_mul_i32 s2, s2, s10
	s_sub_i32 s3, 0, s0
	s_delay_alu instid0(VALU_DEP_2) | instskip(SKIP_2) | instid1(VALU_DEP_2)
	v_add_co_u32 v3, vcc_lo, s26, v3
	v_lshlrev_b64 v[5:6], 1, v[1:2]
	v_add_co_ci_u32_e32 v4, vcc_lo, s27, v4, vcc_lo
	v_add_co_u32 v5, vcc_lo, s24, v5
	s_delay_alu instid0(VALU_DEP_3)
	v_add_co_ci_u32_e32 v6, vcc_lo, s25, v6, vcc_lo
	.p2align	6
.LBB3_3:                                ; =>This Inner Loop Header: Depth=1
	v_mul_hi_u32 v1, s22, v0
	s_delay_alu instid0(VALU_DEP_1) | instskip(NEXT) | instid1(VALU_DEP_1)
	v_add_nc_u32_e32 v1, v0, v1
	v_lshrrev_b32_e32 v1, s23, v1
	s_delay_alu instid0(VALU_DEP_1) | instskip(NEXT) | instid1(VALU_DEP_1)
	v_mad_u64_u32 v[7:8], null, s3, v1, v[0:1]
	v_mul_lo_u32 v1, v7, s4
	s_delay_alu instid0(VALU_DEP_1) | instskip(SKIP_1) | instid1(VALU_DEP_2)
	v_lshlrev_b64 v[7:8], 1, v[1:2]
	v_ashrrev_i32_e32 v1, 31, v0
	v_add_co_u32 v7, vcc_lo, v5, v7
	s_delay_alu instid0(VALU_DEP_3) | instskip(SKIP_3) | instid1(VALU_DEP_1)
	v_add_co_ci_u32_e32 v8, vcc_lo, v6, v8, vcc_lo
	global_load_u16 v9, v[7:8], off
	v_lshlrev_b64 v[7:8], 1, v[0:1]
	v_add_nc_u32_e32 v0, s2, v0
	v_cmp_le_i32_e32 vcc_lo, s16, v0
	s_delay_alu instid0(VALU_DEP_3) | instskip(NEXT) | instid1(VALU_DEP_1)
	v_add_co_u32 v7, s0, v3, v7
	v_add_co_ci_u32_e64 v8, s0, v4, v8, s0
	s_or_b32 s1, vcc_lo, s1
	s_waitcnt vmcnt(0)
	global_store_b16 v[7:8], v9, off
	s_and_not1_b32 exec_lo, exec_lo, s1
	s_cbranch_execnz .LBB3_3
.LBB3_4:
	s_nop 0
	s_sendmsg sendmsg(MSG_DEALLOC_VGPRS)
	s_endpgm
	.section	.rodata,"a",@progbits
	.p2align	6, 0x0
	.amdhsa_kernel _ZL11k_bin_bcastIXadL_ZL9op_repeatffEE6__halfS0_S0_JEEvPKT0_PKT1_PT2_iii15HIP_vector_typeIjLj3EESA_SA_SA_SA_iiiiiiiiiiiDpT3_
		.amdhsa_group_segment_fixed_size 0
		.amdhsa_private_segment_fixed_size 0
		.amdhsa_kernarg_size 400
		.amdhsa_user_sgpr_count 13
		.amdhsa_user_sgpr_dispatch_ptr 0
		.amdhsa_user_sgpr_queue_ptr 0
		.amdhsa_user_sgpr_kernarg_segment_ptr 1
		.amdhsa_user_sgpr_dispatch_id 0
		.amdhsa_user_sgpr_private_segment_size 0
		.amdhsa_wavefront_size32 1
		.amdhsa_uses_dynamic_stack 0
		.amdhsa_enable_private_segment 0
		.amdhsa_system_sgpr_workgroup_id_x 1
		.amdhsa_system_sgpr_workgroup_id_y 1
		.amdhsa_system_sgpr_workgroup_id_z 1
		.amdhsa_system_sgpr_workgroup_info 0
		.amdhsa_system_vgpr_workitem_id 2
		.amdhsa_next_free_vgpr 11
		.amdhsa_next_free_sgpr 32
		.amdhsa_reserve_vcc 1
		.amdhsa_float_round_mode_32 0
		.amdhsa_float_round_mode_16_64 0
		.amdhsa_float_denorm_mode_32 3
		.amdhsa_float_denorm_mode_16_64 3
		.amdhsa_dx10_clamp 1
		.amdhsa_ieee_mode 1
		.amdhsa_fp16_overflow 0
		.amdhsa_workgroup_processor_mode 1
		.amdhsa_memory_ordered 1
		.amdhsa_forward_progress 0
		.amdhsa_shared_vgpr_count 0
		.amdhsa_exception_fp_ieee_invalid_op 0
		.amdhsa_exception_fp_denorm_src 0
		.amdhsa_exception_fp_ieee_div_zero 0
		.amdhsa_exception_fp_ieee_overflow 0
		.amdhsa_exception_fp_ieee_underflow 0
		.amdhsa_exception_fp_ieee_inexact 0
		.amdhsa_exception_int_div_zero 0
	.end_amdhsa_kernel
	.section	.text._ZL11k_bin_bcastIXadL_ZL9op_repeatffEE6__halfS0_S0_JEEvPKT0_PKT1_PT2_iii15HIP_vector_typeIjLj3EESA_SA_SA_SA_iiiiiiiiiiiDpT3_,"axG",@progbits,_ZL11k_bin_bcastIXadL_ZL9op_repeatffEE6__halfS0_S0_JEEvPKT0_PKT1_PT2_iii15HIP_vector_typeIjLj3EESA_SA_SA_SA_iiiiiiiiiiiDpT3_,comdat
.Lfunc_end3:
	.size	_ZL11k_bin_bcastIXadL_ZL9op_repeatffEE6__halfS0_S0_JEEvPKT0_PKT1_PT2_iii15HIP_vector_typeIjLj3EESA_SA_SA_SA_iiiiiiiiiiiDpT3_, .Lfunc_end3-_ZL11k_bin_bcastIXadL_ZL9op_repeatffEE6__halfS0_S0_JEEvPKT0_PKT1_PT2_iii15HIP_vector_typeIjLj3EESA_SA_SA_SA_iiiiiiiiiiiDpT3_
                                        ; -- End function
	.section	.AMDGPU.csdata,"",@progbits
; Kernel info:
; codeLenInByte = 680
; NumSgprs: 34
; NumVgprs: 11
; ScratchSize: 0
; MemoryBound: 0
; FloatMode: 240
; IeeeMode: 1
; LDSByteSize: 0 bytes/workgroup (compile time only)
; SGPRBlocks: 4
; VGPRBlocks: 1
; NumSGPRsForWavesPerEU: 34
; NumVGPRsForWavesPerEU: 11
; Occupancy: 16
; WaveLimiterHint : 1
; COMPUTE_PGM_RSRC2:SCRATCH_EN: 0
; COMPUTE_PGM_RSRC2:USER_SGPR: 13
; COMPUTE_PGM_RSRC2:TRAP_HANDLER: 0
; COMPUTE_PGM_RSRC2:TGID_X_EN: 1
; COMPUTE_PGM_RSRC2:TGID_Y_EN: 1
; COMPUTE_PGM_RSRC2:TGID_Z_EN: 1
; COMPUTE_PGM_RSRC2:TIDIG_COMP_CNT: 2
	.section	.text._ZL19k_bin_bcast_unravelIXadL_ZL9op_repeatffEE6__halffS0_JEEvPKT0_PKT1_PT2_15HIP_vector_typeIjLj3EESA_SA_jSA_SA_SA_SA_SA_SA_iiiiiiiiiiiDpT3_,"axG",@progbits,_ZL19k_bin_bcast_unravelIXadL_ZL9op_repeatffEE6__halffS0_JEEvPKT0_PKT1_PT2_15HIP_vector_typeIjLj3EESA_SA_jSA_SA_SA_SA_SA_SA_iiiiiiiiiiiDpT3_,comdat
	.globl	_ZL19k_bin_bcast_unravelIXadL_ZL9op_repeatffEE6__halffS0_JEEvPKT0_PKT1_PT2_15HIP_vector_typeIjLj3EESA_SA_jSA_SA_SA_SA_SA_SA_iiiiiiiiiiiDpT3_ ; -- Begin function _ZL19k_bin_bcast_unravelIXadL_ZL9op_repeatffEE6__halffS0_JEEvPKT0_PKT1_PT2_15HIP_vector_typeIjLj3EESA_SA_jSA_SA_SA_SA_SA_SA_iiiiiiiiiiiDpT3_
	.p2align	8
	.type	_ZL19k_bin_bcast_unravelIXadL_ZL9op_repeatffEE6__halffS0_JEEvPKT0_PKT1_PT2_15HIP_vector_typeIjLj3EESA_SA_jSA_SA_SA_SA_SA_SA_iiiiiiiiiiiDpT3_,@function
_ZL19k_bin_bcast_unravelIXadL_ZL9op_repeatffEE6__halffS0_JEEvPKT0_PKT1_PT2_15HIP_vector_typeIjLj3EESA_SA_jSA_SA_SA_SA_SA_SA_iiiiiiiiiiiDpT3_: ; @_ZL19k_bin_bcast_unravelIXadL_ZL9op_repeatffEE6__halffS0_JEEvPKT0_PKT1_PT2_15HIP_vector_typeIjLj3EESA_SA_jSA_SA_SA_SA_SA_SA_iiiiiiiiiiiDpT3_
; %bb.0:
	s_clause 0x1
	s_load_b32 s2, s[0:1], 0xc4
	s_load_b256 s[4:11], s[0:1], 0x38
	s_waitcnt lgkmcnt(0)
	s_and_b32 s2, s2, 0xffff
	s_delay_alu instid0(SALU_CYCLE_1) | instskip(SKIP_3) | instid1(VALU_DEP_1)
	v_mad_u64_u32 v[2:3], null, s15, s2, v[0:1]
	s_clause 0x1
	s_load_b128 s[12:15], s[0:1], 0x18
	s_load_b32 s2, s[0:1], 0x2c
	v_mul_hi_u32 v0, v2, s6
	s_delay_alu instid0(VALU_DEP_1) | instskip(NEXT) | instid1(VALU_DEP_1)
	v_add_nc_u32_e32 v0, v2, v0
	v_lshrrev_b32_e32 v1, s7, v0
	s_delay_alu instid0(VALU_DEP_1) | instskip(NEXT) | instid1(VALU_DEP_1)
	v_mul_lo_u32 v0, v1, s8
	v_sub_nc_u32_e32 v0, v2, v0
	s_delay_alu instid0(VALU_DEP_1) | instskip(NEXT) | instid1(VALU_DEP_1)
	v_mul_hi_u32 v2, v0, s9
	v_add_nc_u32_e32 v2, v0, v2
	s_delay_alu instid0(VALU_DEP_1) | instskip(NEXT) | instid1(VALU_DEP_1)
	v_lshrrev_b32_e32 v2, s10, v2
	v_mul_lo_u32 v3, v2, s11
	v_cmp_gt_u32_e64 s3, s4, v2
	v_cmp_gt_u32_e64 s4, s5, v1
	s_delay_alu instid0(VALU_DEP_3) | instskip(SKIP_1) | instid1(VALU_DEP_1)
	v_sub_nc_u32_e32 v0, v0, v3
	s_waitcnt lgkmcnt(0)
	v_mul_hi_u32 v3, v0, s12
	s_delay_alu instid0(VALU_DEP_1) | instskip(NEXT) | instid1(VALU_DEP_1)
	v_add_nc_u32_e32 v3, v0, v3
	v_lshrrev_b32_e32 v3, s13, v3
	s_delay_alu instid0(VALU_DEP_1) | instskip(SKIP_1) | instid1(VALU_DEP_2)
	v_mul_lo_u32 v4, v3, s14
	v_cmp_gt_u32_e64 s2, s2, v3
	v_sub_nc_u32_e32 v0, v0, v4
	s_delay_alu instid0(VALU_DEP_1) | instskip(NEXT) | instid1(VALU_DEP_3)
	v_cmp_gt_u32_e32 vcc_lo, s14, v0
	s_and_b32 s2, vcc_lo, s2
	s_delay_alu instid0(SALU_CYCLE_1) | instskip(NEXT) | instid1(SALU_CYCLE_1)
	s_and_b32 s2, s2, s3
	s_and_b32 s2, s4, s2
	s_delay_alu instid0(SALU_CYCLE_1)
	s_and_saveexec_b32 s3, s2
	s_cbranch_execz .LBB4_2
; %bb.1:
	s_clause 0x3
	s_load_b256 s[4:11], s[0:1], 0x78
	s_load_b256 s[12:19], s[0:1], 0x58
	s_load_b128 s[20:23], s[0:1], 0xa4
	s_load_b128 s[0:3], s[0:1], 0x8
	s_waitcnt lgkmcnt(0)
	v_mul_hi_u32 v4, s5, v1
	v_mul_hi_u32 v5, s18, v2
	;; [unrolled: 1-line block ×4, first 2 shown]
	s_delay_alu instid0(VALU_DEP_4) | instskip(NEXT) | instid1(VALU_DEP_4)
	v_add_nc_u32_e32 v4, v1, v4
	v_add_nc_u32_e32 v5, v2, v5
	s_delay_alu instid0(VALU_DEP_4) | instskip(NEXT) | instid1(VALU_DEP_4)
	v_add_nc_u32_e32 v6, v3, v6
	v_add_nc_u32_e32 v7, v0, v7
	s_delay_alu instid0(VALU_DEP_4) | instskip(NEXT) | instid1(VALU_DEP_4)
	v_lshrrev_b32_e32 v4, s6, v4
	v_lshrrev_b32_e32 v5, s19, v5
	s_delay_alu instid0(VALU_DEP_4) | instskip(NEXT) | instid1(VALU_DEP_4)
	v_lshrrev_b32_e32 v6, s16, v6
	v_lshrrev_b32_e32 v7, s13, v7
	s_delay_alu instid0(VALU_DEP_4) | instskip(NEXT) | instid1(VALU_DEP_4)
	v_mul_lo_u32 v4, v4, s7
	v_mul_lo_u32 v5, v5, s4
	s_delay_alu instid0(VALU_DEP_4) | instskip(NEXT) | instid1(VALU_DEP_4)
	v_mul_lo_u32 v6, v6, s17
	v_mul_lo_u32 v7, v7, s14
	s_delay_alu instid0(VALU_DEP_4) | instskip(NEXT) | instid1(VALU_DEP_4)
	v_sub_nc_u32_e32 v4, v1, v4
	v_sub_nc_u32_e32 v5, v2, v5
	s_delay_alu instid0(VALU_DEP_4) | instskip(NEXT) | instid1(VALU_DEP_4)
	v_sub_nc_u32_e32 v6, v3, v6
	v_sub_nc_u32_e32 v7, v0, v7
	v_mul_lo_u32 v1, v1, s10
	v_mul_lo_u32 v4, v4, s23
	;; [unrolled: 1-line block ×5, first 2 shown]
	s_delay_alu instid0(VALU_DEP_2) | instskip(SKIP_1) | instid1(VALU_DEP_2)
	v_add3_u32 v4, v5, v4, v6
	v_mul_lo_u32 v6, v7, s20
	v_ashrrev_i32_e32 v5, 31, v4
	s_delay_alu instid0(VALU_DEP_2) | instskip(NEXT) | instid1(VALU_DEP_2)
	v_ashrrev_i32_e32 v7, 31, v6
	v_lshlrev_b64 v[4:5], 2, v[4:5]
	s_delay_alu instid0(VALU_DEP_2) | instskip(NEXT) | instid1(VALU_DEP_2)
	v_lshlrev_b64 v[6:7], 2, v[6:7]
	v_add_co_u32 v4, vcc_lo, s0, v4
	s_delay_alu instid0(VALU_DEP_3) | instskip(NEXT) | instid1(VALU_DEP_2)
	v_add_co_ci_u32_e32 v5, vcc_lo, s1, v5, vcc_lo
	v_add_co_u32 v4, vcc_lo, v4, v6
	s_delay_alu instid0(VALU_DEP_2) | instskip(SKIP_3) | instid1(VALU_DEP_2)
	v_add_co_ci_u32_e32 v5, vcc_lo, v5, v7, vcc_lo
	global_load_b32 v4, v[4:5], off
	v_mul_lo_u32 v5, v3, s8
	v_mov_b32_e32 v3, 0
	v_add3_u32 v2, v2, v1, v5
	s_delay_alu instid0(VALU_DEP_2) | instskip(NEXT) | instid1(VALU_DEP_2)
	v_mov_b32_e32 v1, v3
	v_lshlrev_b64 v[2:3], 1, v[2:3]
	s_delay_alu instid0(VALU_DEP_2) | instskip(NEXT) | instid1(VALU_DEP_2)
	v_lshlrev_b64 v[0:1], 1, v[0:1]
	v_add_co_u32 v2, vcc_lo, s2, v2
	s_delay_alu instid0(VALU_DEP_3) | instskip(NEXT) | instid1(VALU_DEP_2)
	v_add_co_ci_u32_e32 v3, vcc_lo, s3, v3, vcc_lo
	v_add_co_u32 v0, vcc_lo, v2, v0
	s_delay_alu instid0(VALU_DEP_2)
	v_add_co_ci_u32_e32 v1, vcc_lo, v3, v1, vcc_lo
	s_waitcnt vmcnt(0)
	v_cvt_f16_f32_e32 v4, v4
	global_store_b16 v[0:1], v4, off
.LBB4_2:
	s_nop 0
	s_sendmsg sendmsg(MSG_DEALLOC_VGPRS)
	s_endpgm
	.section	.rodata,"a",@progbits
	.p2align	6, 0x0
	.amdhsa_kernel _ZL19k_bin_bcast_unravelIXadL_ZL9op_repeatffEE6__halffS0_JEEvPKT0_PKT1_PT2_15HIP_vector_typeIjLj3EESA_SA_jSA_SA_SA_SA_SA_SA_iiiiiiiiiiiDpT3_
		.amdhsa_group_segment_fixed_size 0
		.amdhsa_private_segment_fixed_size 0
		.amdhsa_kernarg_size 440
		.amdhsa_user_sgpr_count 15
		.amdhsa_user_sgpr_dispatch_ptr 0
		.amdhsa_user_sgpr_queue_ptr 0
		.amdhsa_user_sgpr_kernarg_segment_ptr 1
		.amdhsa_user_sgpr_dispatch_id 0
		.amdhsa_user_sgpr_private_segment_size 0
		.amdhsa_wavefront_size32 1
		.amdhsa_uses_dynamic_stack 0
		.amdhsa_enable_private_segment 0
		.amdhsa_system_sgpr_workgroup_id_x 1
		.amdhsa_system_sgpr_workgroup_id_y 0
		.amdhsa_system_sgpr_workgroup_id_z 0
		.amdhsa_system_sgpr_workgroup_info 0
		.amdhsa_system_vgpr_workitem_id 0
		.amdhsa_next_free_vgpr 8
		.amdhsa_next_free_sgpr 24
		.amdhsa_reserve_vcc 1
		.amdhsa_float_round_mode_32 0
		.amdhsa_float_round_mode_16_64 0
		.amdhsa_float_denorm_mode_32 3
		.amdhsa_float_denorm_mode_16_64 3
		.amdhsa_dx10_clamp 1
		.amdhsa_ieee_mode 1
		.amdhsa_fp16_overflow 0
		.amdhsa_workgroup_processor_mode 1
		.amdhsa_memory_ordered 1
		.amdhsa_forward_progress 0
		.amdhsa_shared_vgpr_count 0
		.amdhsa_exception_fp_ieee_invalid_op 0
		.amdhsa_exception_fp_denorm_src 0
		.amdhsa_exception_fp_ieee_div_zero 0
		.amdhsa_exception_fp_ieee_overflow 0
		.amdhsa_exception_fp_ieee_underflow 0
		.amdhsa_exception_fp_ieee_inexact 0
		.amdhsa_exception_int_div_zero 0
	.end_amdhsa_kernel
	.section	.text._ZL19k_bin_bcast_unravelIXadL_ZL9op_repeatffEE6__halffS0_JEEvPKT0_PKT1_PT2_15HIP_vector_typeIjLj3EESA_SA_jSA_SA_SA_SA_SA_SA_iiiiiiiiiiiDpT3_,"axG",@progbits,_ZL19k_bin_bcast_unravelIXadL_ZL9op_repeatffEE6__halffS0_JEEvPKT0_PKT1_PT2_15HIP_vector_typeIjLj3EESA_SA_jSA_SA_SA_SA_SA_SA_iiiiiiiiiiiDpT3_,comdat
.Lfunc_end4:
	.size	_ZL19k_bin_bcast_unravelIXadL_ZL9op_repeatffEE6__halffS0_JEEvPKT0_PKT1_PT2_15HIP_vector_typeIjLj3EESA_SA_jSA_SA_SA_SA_SA_SA_iiiiiiiiiiiDpT3_, .Lfunc_end4-_ZL19k_bin_bcast_unravelIXadL_ZL9op_repeatffEE6__halffS0_JEEvPKT0_PKT1_PT2_15HIP_vector_typeIjLj3EESA_SA_jSA_SA_SA_SA_SA_SA_iiiiiiiiiiiDpT3_
                                        ; -- End function
	.section	.AMDGPU.csdata,"",@progbits
; Kernel info:
; codeLenInByte = 664
; NumSgprs: 26
; NumVgprs: 8
; ScratchSize: 0
; MemoryBound: 0
; FloatMode: 240
; IeeeMode: 1
; LDSByteSize: 0 bytes/workgroup (compile time only)
; SGPRBlocks: 3
; VGPRBlocks: 0
; NumSGPRsForWavesPerEU: 26
; NumVGPRsForWavesPerEU: 8
; Occupancy: 16
; WaveLimiterHint : 1
; COMPUTE_PGM_RSRC2:SCRATCH_EN: 0
; COMPUTE_PGM_RSRC2:USER_SGPR: 15
; COMPUTE_PGM_RSRC2:TRAP_HANDLER: 0
; COMPUTE_PGM_RSRC2:TGID_X_EN: 1
; COMPUTE_PGM_RSRC2:TGID_Y_EN: 0
; COMPUTE_PGM_RSRC2:TGID_Z_EN: 0
; COMPUTE_PGM_RSRC2:TIDIG_COMP_CNT: 0
	.section	.text._ZL11k_bin_bcastIXadL_ZL9op_repeatffEE6__halffS0_JEEvPKT0_PKT1_PT2_iii15HIP_vector_typeIjLj3EESA_SA_SA_SA_iiiiiiiiiiiDpT3_,"axG",@progbits,_ZL11k_bin_bcastIXadL_ZL9op_repeatffEE6__halffS0_JEEvPKT0_PKT1_PT2_iii15HIP_vector_typeIjLj3EESA_SA_SA_SA_iiiiiiiiiiiDpT3_,comdat
	.globl	_ZL11k_bin_bcastIXadL_ZL9op_repeatffEE6__halffS0_JEEvPKT0_PKT1_PT2_iii15HIP_vector_typeIjLj3EESA_SA_SA_SA_iiiiiiiiiiiDpT3_ ; -- Begin function _ZL11k_bin_bcastIXadL_ZL9op_repeatffEE6__halffS0_JEEvPKT0_PKT1_PT2_iii15HIP_vector_typeIjLj3EESA_SA_SA_SA_iiiiiiiiiiiDpT3_
	.p2align	8
	.type	_ZL11k_bin_bcastIXadL_ZL9op_repeatffEE6__halffS0_JEEvPKT0_PKT1_PT2_iii15HIP_vector_typeIjLj3EESA_SA_SA_SA_iiiiiiiiiiiDpT3_,@function
_ZL11k_bin_bcastIXadL_ZL9op_repeatffEE6__halffS0_JEEvPKT0_PKT1_PT2_iii15HIP_vector_typeIjLj3EESA_SA_SA_SA_iiiiiiiiiiiDpT3_: ; @_ZL11k_bin_bcastIXadL_ZL9op_repeatffEE6__halffS0_JEEvPKT0_PKT1_PT2_iii15HIP_vector_typeIjLj3EESA_SA_SA_SA_iiiiiiiiiiiDpT3_
; %bb.0:
	s_clause 0x1
	s_load_b64 s[2:3], s[0:1], 0x9c
	s_load_b256 s[16:23], s[0:1], 0x18
	v_bfe_u32 v1, v0, 20, 10
	s_add_u32 s8, s0, 0x90
	s_addc_u32 s9, s1, 0
	s_waitcnt lgkmcnt(0)
	s_and_b32 s3, s3, 0xffff
	s_and_b32 s10, s2, 0xffff
	v_mad_u64_u32 v[4:5], null, s15, s3, v[1:2]
	v_and_b32_e32 v2, 0x3ff, v0
	v_bfe_u32 v5, v0, 10, 10
	s_lshr_b32 s3, s2, 16
	s_delay_alu instid0(VALU_DEP_3) | instskip(NEXT) | instid1(VALU_DEP_1)
	v_mul_hi_u32 v1, v4, s19
	v_add_nc_u32_e32 v1, v4, v1
	s_delay_alu instid0(VALU_DEP_1) | instskip(NEXT) | instid1(VALU_DEP_1)
	v_lshrrev_b32_e32 v3, s20, v1
	v_mul_lo_u32 v6, v3, s21
	v_mad_u64_u32 v[0:1], null, s13, s10, v[2:3]
	s_delay_alu instid0(VALU_DEP_2) | instskip(SKIP_1) | instid1(VALU_DEP_3)
	v_mad_u64_u32 v[1:2], null, s14, s3, v[5:6]
	v_sub_nc_u32_e32 v2, v4, v6
	v_cmp_gt_u32_e32 vcc_lo, s16, v0
	v_cmp_gt_u32_e64 s3, s18, v3
	s_delay_alu instid0(VALU_DEP_3) | instskip(SKIP_1) | instid1(VALU_DEP_1)
	v_cmp_gt_u32_e64 s4, s21, v2
	v_cmp_gt_u32_e64 s2, s17, v1
	s_and_b32 s2, vcc_lo, s2
	s_delay_alu instid0(VALU_DEP_3) | instid1(SALU_CYCLE_1)
	s_and_b32 s2, s2, s3
	s_delay_alu instid0(VALU_DEP_2) | instid1(SALU_CYCLE_1)
	s_and_b32 s2, s2, s4
	s_delay_alu instid0(SALU_CYCLE_1)
	s_and_saveexec_b32 s3, s2
	s_cbranch_execz .LBB5_4
; %bb.1:
	v_cmp_gt_i32_e32 vcc_lo, s16, v0
	s_and_b32 exec_lo, exec_lo, vcc_lo
	s_cbranch_execz .LBB5_4
; %bb.2:
	s_clause 0x3
	s_load_b256 s[24:31], s[0:1], 0x3c
	s_load_b32 s2, s[0:1], 0x5c
	s_load_b128 s[12:15], s[0:1], 0x60
	s_load_b128 s[4:7], s[0:1], 0x7c
	s_waitcnt lgkmcnt(0)
	v_mul_hi_u32 v4, s27, v3
	v_mul_hi_u32 v5, s30, v2
	;; [unrolled: 1-line block ×3, first 2 shown]
	s_delay_alu instid0(VALU_DEP_3) | instskip(NEXT) | instid1(VALU_DEP_3)
	v_add_nc_u32_e32 v4, v3, v4
	v_add_nc_u32_e32 v5, v2, v5
	s_delay_alu instid0(VALU_DEP_3) | instskip(NEXT) | instid1(VALU_DEP_3)
	v_add_nc_u32_e32 v6, v1, v6
	v_lshrrev_b32_e32 v4, s28, v4
	s_delay_alu instid0(VALU_DEP_3) | instskip(NEXT) | instid1(VALU_DEP_3)
	v_lshrrev_b32_e32 v5, s31, v5
	v_lshrrev_b32_e32 v6, s25, v6
	s_delay_alu instid0(VALU_DEP_3) | instskip(NEXT) | instid1(VALU_DEP_3)
	v_mul_lo_u32 v4, v4, s29
	v_mul_lo_u32 v5, v5, s2
	s_delay_alu instid0(VALU_DEP_3)
	v_mul_lo_u32 v6, v6, s26
	s_load_b128 s[24:27], s[0:1], 0x8
	v_mul_lo_u32 v7, v2, s14
	v_mul_lo_u32 v8, v3, s13
	v_mul_lo_u32 v9, v1, s12
	s_load_b32 s2, s[8:9], 0x0
	s_load_b32 s0, s[0:1], 0x38
	v_sub_nc_u32_e32 v3, v3, v4
	v_sub_nc_u32_e32 v2, v2, v5
	;; [unrolled: 1-line block ×3, first 2 shown]
	s_mov_b32 s1, 0
	s_delay_alu instid0(VALU_DEP_3) | instskip(NEXT) | instid1(VALU_DEP_3)
	v_mul_lo_u32 v5, v3, s6
	v_mul_lo_u32 v6, v2, s7
	v_mov_b32_e32 v2, 0
	v_mul_lo_u32 v10, v1, s5
	v_add3_u32 v1, v8, v9, v7
	s_delay_alu instid0(VALU_DEP_1) | instskip(NEXT) | instid1(VALU_DEP_3)
	v_lshlrev_b64 v[3:4], 1, v[1:2]
	v_add3_u32 v1, v5, v6, v10
	s_waitcnt lgkmcnt(0)
	s_mul_i32 s2, s2, s10
	s_sub_i32 s3, 0, s0
	s_delay_alu instid0(VALU_DEP_2) | instskip(SKIP_2) | instid1(VALU_DEP_2)
	v_add_co_u32 v3, vcc_lo, s26, v3
	v_lshlrev_b64 v[5:6], 2, v[1:2]
	v_add_co_ci_u32_e32 v4, vcc_lo, s27, v4, vcc_lo
	v_add_co_u32 v5, vcc_lo, s24, v5
	s_delay_alu instid0(VALU_DEP_3)
	v_add_co_ci_u32_e32 v6, vcc_lo, s25, v6, vcc_lo
	.p2align	6
.LBB5_3:                                ; =>This Inner Loop Header: Depth=1
	v_mul_hi_u32 v1, s22, v0
	s_delay_alu instid0(VALU_DEP_1) | instskip(NEXT) | instid1(VALU_DEP_1)
	v_add_nc_u32_e32 v1, v0, v1
	v_lshrrev_b32_e32 v1, s23, v1
	s_delay_alu instid0(VALU_DEP_1) | instskip(NEXT) | instid1(VALU_DEP_1)
	v_mad_u64_u32 v[7:8], null, s3, v1, v[0:1]
	v_mul_lo_u32 v1, v7, s4
	s_delay_alu instid0(VALU_DEP_1) | instskip(SKIP_1) | instid1(VALU_DEP_2)
	v_lshlrev_b64 v[7:8], 2, v[1:2]
	v_ashrrev_i32_e32 v1, 31, v0
	v_add_co_u32 v7, vcc_lo, v5, v7
	s_delay_alu instid0(VALU_DEP_3) | instskip(SKIP_3) | instid1(VALU_DEP_1)
	v_add_co_ci_u32_e32 v8, vcc_lo, v6, v8, vcc_lo
	global_load_b32 v9, v[7:8], off
	v_lshlrev_b64 v[7:8], 1, v[0:1]
	v_add_nc_u32_e32 v0, s2, v0
	v_cmp_le_i32_e32 vcc_lo, s16, v0
	s_delay_alu instid0(VALU_DEP_3) | instskip(NEXT) | instid1(VALU_DEP_1)
	v_add_co_u32 v7, s0, v3, v7
	v_add_co_ci_u32_e64 v8, s0, v4, v8, s0
	s_or_b32 s1, vcc_lo, s1
	s_waitcnt vmcnt(0)
	v_cvt_f16_f32_e32 v1, v9
	global_store_b16 v[7:8], v1, off
	s_and_not1_b32 exec_lo, exec_lo, s1
	s_cbranch_execnz .LBB5_3
.LBB5_4:
	s_nop 0
	s_sendmsg sendmsg(MSG_DEALLOC_VGPRS)
	s_endpgm
	.section	.rodata,"a",@progbits
	.p2align	6, 0x0
	.amdhsa_kernel _ZL11k_bin_bcastIXadL_ZL9op_repeatffEE6__halffS0_JEEvPKT0_PKT1_PT2_iii15HIP_vector_typeIjLj3EESA_SA_SA_SA_iiiiiiiiiiiDpT3_
		.amdhsa_group_segment_fixed_size 0
		.amdhsa_private_segment_fixed_size 0
		.amdhsa_kernarg_size 400
		.amdhsa_user_sgpr_count 13
		.amdhsa_user_sgpr_dispatch_ptr 0
		.amdhsa_user_sgpr_queue_ptr 0
		.amdhsa_user_sgpr_kernarg_segment_ptr 1
		.amdhsa_user_sgpr_dispatch_id 0
		.amdhsa_user_sgpr_private_segment_size 0
		.amdhsa_wavefront_size32 1
		.amdhsa_uses_dynamic_stack 0
		.amdhsa_enable_private_segment 0
		.amdhsa_system_sgpr_workgroup_id_x 1
		.amdhsa_system_sgpr_workgroup_id_y 1
		.amdhsa_system_sgpr_workgroup_id_z 1
		.amdhsa_system_sgpr_workgroup_info 0
		.amdhsa_system_vgpr_workitem_id 2
		.amdhsa_next_free_vgpr 11
		.amdhsa_next_free_sgpr 32
		.amdhsa_reserve_vcc 1
		.amdhsa_float_round_mode_32 0
		.amdhsa_float_round_mode_16_64 0
		.amdhsa_float_denorm_mode_32 3
		.amdhsa_float_denorm_mode_16_64 3
		.amdhsa_dx10_clamp 1
		.amdhsa_ieee_mode 1
		.amdhsa_fp16_overflow 0
		.amdhsa_workgroup_processor_mode 1
		.amdhsa_memory_ordered 1
		.amdhsa_forward_progress 0
		.amdhsa_shared_vgpr_count 0
		.amdhsa_exception_fp_ieee_invalid_op 0
		.amdhsa_exception_fp_denorm_src 0
		.amdhsa_exception_fp_ieee_div_zero 0
		.amdhsa_exception_fp_ieee_overflow 0
		.amdhsa_exception_fp_ieee_underflow 0
		.amdhsa_exception_fp_ieee_inexact 0
		.amdhsa_exception_int_div_zero 0
	.end_amdhsa_kernel
	.section	.text._ZL11k_bin_bcastIXadL_ZL9op_repeatffEE6__halffS0_JEEvPKT0_PKT1_PT2_iii15HIP_vector_typeIjLj3EESA_SA_SA_SA_iiiiiiiiiiiDpT3_,"axG",@progbits,_ZL11k_bin_bcastIXadL_ZL9op_repeatffEE6__halffS0_JEEvPKT0_PKT1_PT2_iii15HIP_vector_typeIjLj3EESA_SA_SA_SA_iiiiiiiiiiiDpT3_,comdat
.Lfunc_end5:
	.size	_ZL11k_bin_bcastIXadL_ZL9op_repeatffEE6__halffS0_JEEvPKT0_PKT1_PT2_iii15HIP_vector_typeIjLj3EESA_SA_SA_SA_iiiiiiiiiiiDpT3_, .Lfunc_end5-_ZL11k_bin_bcastIXadL_ZL9op_repeatffEE6__halffS0_JEEvPKT0_PKT1_PT2_iii15HIP_vector_typeIjLj3EESA_SA_SA_SA_iiiiiiiiiiiDpT3_
                                        ; -- End function
	.section	.AMDGPU.csdata,"",@progbits
; Kernel info:
; codeLenInByte = 684
; NumSgprs: 34
; NumVgprs: 11
; ScratchSize: 0
; MemoryBound: 0
; FloatMode: 240
; IeeeMode: 1
; LDSByteSize: 0 bytes/workgroup (compile time only)
; SGPRBlocks: 4
; VGPRBlocks: 1
; NumSGPRsForWavesPerEU: 34
; NumVGPRsForWavesPerEU: 11
; Occupancy: 16
; WaveLimiterHint : 1
; COMPUTE_PGM_RSRC2:SCRATCH_EN: 0
; COMPUTE_PGM_RSRC2:USER_SGPR: 13
; COMPUTE_PGM_RSRC2:TRAP_HANDLER: 0
; COMPUTE_PGM_RSRC2:TGID_X_EN: 1
; COMPUTE_PGM_RSRC2:TGID_Y_EN: 1
; COMPUTE_PGM_RSRC2:TGID_Z_EN: 1
; COMPUTE_PGM_RSRC2:TIDIG_COMP_CNT: 2
	.section	.text._ZL19k_bin_bcast_unravelIXadL_ZL9op_repeatffEE6__halfffJEEvPKT0_PKT1_PT2_15HIP_vector_typeIjLj3EESA_SA_jSA_SA_SA_SA_SA_SA_iiiiiiiiiiiDpT3_,"axG",@progbits,_ZL19k_bin_bcast_unravelIXadL_ZL9op_repeatffEE6__halfffJEEvPKT0_PKT1_PT2_15HIP_vector_typeIjLj3EESA_SA_jSA_SA_SA_SA_SA_SA_iiiiiiiiiiiDpT3_,comdat
	.globl	_ZL19k_bin_bcast_unravelIXadL_ZL9op_repeatffEE6__halfffJEEvPKT0_PKT1_PT2_15HIP_vector_typeIjLj3EESA_SA_jSA_SA_SA_SA_SA_SA_iiiiiiiiiiiDpT3_ ; -- Begin function _ZL19k_bin_bcast_unravelIXadL_ZL9op_repeatffEE6__halfffJEEvPKT0_PKT1_PT2_15HIP_vector_typeIjLj3EESA_SA_jSA_SA_SA_SA_SA_SA_iiiiiiiiiiiDpT3_
	.p2align	8
	.type	_ZL19k_bin_bcast_unravelIXadL_ZL9op_repeatffEE6__halfffJEEvPKT0_PKT1_PT2_15HIP_vector_typeIjLj3EESA_SA_jSA_SA_SA_SA_SA_SA_iiiiiiiiiiiDpT3_,@function
_ZL19k_bin_bcast_unravelIXadL_ZL9op_repeatffEE6__halfffJEEvPKT0_PKT1_PT2_15HIP_vector_typeIjLj3EESA_SA_jSA_SA_SA_SA_SA_SA_iiiiiiiiiiiDpT3_: ; @_ZL19k_bin_bcast_unravelIXadL_ZL9op_repeatffEE6__halfffJEEvPKT0_PKT1_PT2_15HIP_vector_typeIjLj3EESA_SA_jSA_SA_SA_SA_SA_SA_iiiiiiiiiiiDpT3_
; %bb.0:
	s_clause 0x1
	s_load_b32 s2, s[0:1], 0xc4
	s_load_b256 s[4:11], s[0:1], 0x38
	s_waitcnt lgkmcnt(0)
	s_and_b32 s2, s2, 0xffff
	s_delay_alu instid0(SALU_CYCLE_1) | instskip(SKIP_3) | instid1(VALU_DEP_1)
	v_mad_u64_u32 v[2:3], null, s15, s2, v[0:1]
	s_clause 0x1
	s_load_b128 s[12:15], s[0:1], 0x18
	s_load_b32 s2, s[0:1], 0x2c
	v_mul_hi_u32 v0, v2, s6
	s_delay_alu instid0(VALU_DEP_1) | instskip(NEXT) | instid1(VALU_DEP_1)
	v_add_nc_u32_e32 v0, v2, v0
	v_lshrrev_b32_e32 v1, s7, v0
	s_delay_alu instid0(VALU_DEP_1) | instskip(NEXT) | instid1(VALU_DEP_1)
	v_mul_lo_u32 v0, v1, s8
	v_sub_nc_u32_e32 v0, v2, v0
	s_delay_alu instid0(VALU_DEP_1) | instskip(NEXT) | instid1(VALU_DEP_1)
	v_mul_hi_u32 v2, v0, s9
	v_add_nc_u32_e32 v2, v0, v2
	s_delay_alu instid0(VALU_DEP_1) | instskip(NEXT) | instid1(VALU_DEP_1)
	v_lshrrev_b32_e32 v2, s10, v2
	v_mul_lo_u32 v3, v2, s11
	v_cmp_gt_u32_e64 s3, s4, v2
	v_cmp_gt_u32_e64 s4, s5, v1
	s_delay_alu instid0(VALU_DEP_3) | instskip(SKIP_1) | instid1(VALU_DEP_1)
	v_sub_nc_u32_e32 v0, v0, v3
	s_waitcnt lgkmcnt(0)
	v_mul_hi_u32 v3, v0, s12
	s_delay_alu instid0(VALU_DEP_1) | instskip(NEXT) | instid1(VALU_DEP_1)
	v_add_nc_u32_e32 v3, v0, v3
	v_lshrrev_b32_e32 v3, s13, v3
	s_delay_alu instid0(VALU_DEP_1) | instskip(SKIP_1) | instid1(VALU_DEP_2)
	v_mul_lo_u32 v4, v3, s14
	v_cmp_gt_u32_e64 s2, s2, v3
	v_sub_nc_u32_e32 v0, v0, v4
	s_delay_alu instid0(VALU_DEP_1) | instskip(NEXT) | instid1(VALU_DEP_3)
	v_cmp_gt_u32_e32 vcc_lo, s14, v0
	s_and_b32 s2, vcc_lo, s2
	s_delay_alu instid0(SALU_CYCLE_1) | instskip(NEXT) | instid1(SALU_CYCLE_1)
	s_and_b32 s2, s2, s3
	s_and_b32 s2, s4, s2
	s_delay_alu instid0(SALU_CYCLE_1)
	s_and_saveexec_b32 s3, s2
	s_cbranch_execz .LBB6_2
; %bb.1:
	s_clause 0x3
	s_load_b256 s[4:11], s[0:1], 0x78
	s_load_b256 s[12:19], s[0:1], 0x58
	s_load_b128 s[20:23], s[0:1], 0xa4
	s_load_b128 s[0:3], s[0:1], 0x8
	s_waitcnt lgkmcnt(0)
	v_mul_hi_u32 v4, s5, v1
	v_mul_hi_u32 v5, s18, v2
	;; [unrolled: 1-line block ×4, first 2 shown]
	s_delay_alu instid0(VALU_DEP_4) | instskip(NEXT) | instid1(VALU_DEP_4)
	v_add_nc_u32_e32 v4, v1, v4
	v_add_nc_u32_e32 v5, v2, v5
	s_delay_alu instid0(VALU_DEP_4) | instskip(NEXT) | instid1(VALU_DEP_4)
	v_add_nc_u32_e32 v6, v3, v6
	v_add_nc_u32_e32 v7, v0, v7
	s_delay_alu instid0(VALU_DEP_4) | instskip(NEXT) | instid1(VALU_DEP_4)
	v_lshrrev_b32_e32 v4, s6, v4
	v_lshrrev_b32_e32 v5, s19, v5
	s_delay_alu instid0(VALU_DEP_4) | instskip(NEXT) | instid1(VALU_DEP_4)
	v_lshrrev_b32_e32 v6, s16, v6
	v_lshrrev_b32_e32 v7, s13, v7
	s_delay_alu instid0(VALU_DEP_4) | instskip(NEXT) | instid1(VALU_DEP_4)
	v_mul_lo_u32 v4, v4, s7
	v_mul_lo_u32 v5, v5, s4
	s_delay_alu instid0(VALU_DEP_4) | instskip(NEXT) | instid1(VALU_DEP_4)
	v_mul_lo_u32 v6, v6, s17
	v_mul_lo_u32 v7, v7, s14
	s_delay_alu instid0(VALU_DEP_4) | instskip(NEXT) | instid1(VALU_DEP_4)
	v_sub_nc_u32_e32 v4, v1, v4
	v_sub_nc_u32_e32 v5, v2, v5
	s_delay_alu instid0(VALU_DEP_4) | instskip(NEXT) | instid1(VALU_DEP_4)
	v_sub_nc_u32_e32 v6, v3, v6
	v_sub_nc_u32_e32 v7, v0, v7
	v_mul_lo_u32 v1, v1, s10
	v_mul_lo_u32 v4, v4, s23
	;; [unrolled: 1-line block ×5, first 2 shown]
	s_delay_alu instid0(VALU_DEP_2) | instskip(SKIP_1) | instid1(VALU_DEP_2)
	v_add3_u32 v4, v5, v4, v6
	v_mul_lo_u32 v6, v7, s20
	v_ashrrev_i32_e32 v5, 31, v4
	s_delay_alu instid0(VALU_DEP_2) | instskip(NEXT) | instid1(VALU_DEP_2)
	v_ashrrev_i32_e32 v7, 31, v6
	v_lshlrev_b64 v[4:5], 2, v[4:5]
	s_delay_alu instid0(VALU_DEP_2) | instskip(NEXT) | instid1(VALU_DEP_2)
	v_lshlrev_b64 v[6:7], 2, v[6:7]
	v_add_co_u32 v4, vcc_lo, s0, v4
	s_delay_alu instid0(VALU_DEP_3) | instskip(NEXT) | instid1(VALU_DEP_2)
	v_add_co_ci_u32_e32 v5, vcc_lo, s1, v5, vcc_lo
	v_add_co_u32 v4, vcc_lo, v4, v6
	s_delay_alu instid0(VALU_DEP_2) | instskip(SKIP_3) | instid1(VALU_DEP_2)
	v_add_co_ci_u32_e32 v5, vcc_lo, v5, v7, vcc_lo
	global_load_b32 v4, v[4:5], off
	v_mul_lo_u32 v5, v3, s8
	v_mov_b32_e32 v3, 0
	v_add3_u32 v2, v2, v1, v5
	s_delay_alu instid0(VALU_DEP_2) | instskip(NEXT) | instid1(VALU_DEP_2)
	v_mov_b32_e32 v1, v3
	v_lshlrev_b64 v[2:3], 2, v[2:3]
	s_delay_alu instid0(VALU_DEP_2) | instskip(NEXT) | instid1(VALU_DEP_2)
	v_lshlrev_b64 v[0:1], 2, v[0:1]
	v_add_co_u32 v2, vcc_lo, s2, v2
	s_delay_alu instid0(VALU_DEP_3) | instskip(NEXT) | instid1(VALU_DEP_2)
	v_add_co_ci_u32_e32 v3, vcc_lo, s3, v3, vcc_lo
	v_add_co_u32 v0, vcc_lo, v2, v0
	s_delay_alu instid0(VALU_DEP_2)
	v_add_co_ci_u32_e32 v1, vcc_lo, v3, v1, vcc_lo
	s_waitcnt vmcnt(0)
	global_store_b32 v[0:1], v4, off
.LBB6_2:
	s_nop 0
	s_sendmsg sendmsg(MSG_DEALLOC_VGPRS)
	s_endpgm
	.section	.rodata,"a",@progbits
	.p2align	6, 0x0
	.amdhsa_kernel _ZL19k_bin_bcast_unravelIXadL_ZL9op_repeatffEE6__halfffJEEvPKT0_PKT1_PT2_15HIP_vector_typeIjLj3EESA_SA_jSA_SA_SA_SA_SA_SA_iiiiiiiiiiiDpT3_
		.amdhsa_group_segment_fixed_size 0
		.amdhsa_private_segment_fixed_size 0
		.amdhsa_kernarg_size 440
		.amdhsa_user_sgpr_count 15
		.amdhsa_user_sgpr_dispatch_ptr 0
		.amdhsa_user_sgpr_queue_ptr 0
		.amdhsa_user_sgpr_kernarg_segment_ptr 1
		.amdhsa_user_sgpr_dispatch_id 0
		.amdhsa_user_sgpr_private_segment_size 0
		.amdhsa_wavefront_size32 1
		.amdhsa_uses_dynamic_stack 0
		.amdhsa_enable_private_segment 0
		.amdhsa_system_sgpr_workgroup_id_x 1
		.amdhsa_system_sgpr_workgroup_id_y 0
		.amdhsa_system_sgpr_workgroup_id_z 0
		.amdhsa_system_sgpr_workgroup_info 0
		.amdhsa_system_vgpr_workitem_id 0
		.amdhsa_next_free_vgpr 8
		.amdhsa_next_free_sgpr 24
		.amdhsa_reserve_vcc 1
		.amdhsa_float_round_mode_32 0
		.amdhsa_float_round_mode_16_64 0
		.amdhsa_float_denorm_mode_32 3
		.amdhsa_float_denorm_mode_16_64 3
		.amdhsa_dx10_clamp 1
		.amdhsa_ieee_mode 1
		.amdhsa_fp16_overflow 0
		.amdhsa_workgroup_processor_mode 1
		.amdhsa_memory_ordered 1
		.amdhsa_forward_progress 0
		.amdhsa_shared_vgpr_count 0
		.amdhsa_exception_fp_ieee_invalid_op 0
		.amdhsa_exception_fp_denorm_src 0
		.amdhsa_exception_fp_ieee_div_zero 0
		.amdhsa_exception_fp_ieee_overflow 0
		.amdhsa_exception_fp_ieee_underflow 0
		.amdhsa_exception_fp_ieee_inexact 0
		.amdhsa_exception_int_div_zero 0
	.end_amdhsa_kernel
	.section	.text._ZL19k_bin_bcast_unravelIXadL_ZL9op_repeatffEE6__halfffJEEvPKT0_PKT1_PT2_15HIP_vector_typeIjLj3EESA_SA_jSA_SA_SA_SA_SA_SA_iiiiiiiiiiiDpT3_,"axG",@progbits,_ZL19k_bin_bcast_unravelIXadL_ZL9op_repeatffEE6__halfffJEEvPKT0_PKT1_PT2_15HIP_vector_typeIjLj3EESA_SA_jSA_SA_SA_SA_SA_SA_iiiiiiiiiiiDpT3_,comdat
.Lfunc_end6:
	.size	_ZL19k_bin_bcast_unravelIXadL_ZL9op_repeatffEE6__halfffJEEvPKT0_PKT1_PT2_15HIP_vector_typeIjLj3EESA_SA_jSA_SA_SA_SA_SA_SA_iiiiiiiiiiiDpT3_, .Lfunc_end6-_ZL19k_bin_bcast_unravelIXadL_ZL9op_repeatffEE6__halfffJEEvPKT0_PKT1_PT2_15HIP_vector_typeIjLj3EESA_SA_jSA_SA_SA_SA_SA_SA_iiiiiiiiiiiDpT3_
                                        ; -- End function
	.section	.AMDGPU.csdata,"",@progbits
; Kernel info:
; codeLenInByte = 660
; NumSgprs: 26
; NumVgprs: 8
; ScratchSize: 0
; MemoryBound: 0
; FloatMode: 240
; IeeeMode: 1
; LDSByteSize: 0 bytes/workgroup (compile time only)
; SGPRBlocks: 3
; VGPRBlocks: 0
; NumSGPRsForWavesPerEU: 26
; NumVGPRsForWavesPerEU: 8
; Occupancy: 16
; WaveLimiterHint : 1
; COMPUTE_PGM_RSRC2:SCRATCH_EN: 0
; COMPUTE_PGM_RSRC2:USER_SGPR: 15
; COMPUTE_PGM_RSRC2:TRAP_HANDLER: 0
; COMPUTE_PGM_RSRC2:TGID_X_EN: 1
; COMPUTE_PGM_RSRC2:TGID_Y_EN: 0
; COMPUTE_PGM_RSRC2:TGID_Z_EN: 0
; COMPUTE_PGM_RSRC2:TIDIG_COMP_CNT: 0
	.section	.text._ZL11k_bin_bcastIXadL_ZL9op_repeatffEE6__halfffJEEvPKT0_PKT1_PT2_iii15HIP_vector_typeIjLj3EESA_SA_SA_SA_iiiiiiiiiiiDpT3_,"axG",@progbits,_ZL11k_bin_bcastIXadL_ZL9op_repeatffEE6__halfffJEEvPKT0_PKT1_PT2_iii15HIP_vector_typeIjLj3EESA_SA_SA_SA_iiiiiiiiiiiDpT3_,comdat
	.globl	_ZL11k_bin_bcastIXadL_ZL9op_repeatffEE6__halfffJEEvPKT0_PKT1_PT2_iii15HIP_vector_typeIjLj3EESA_SA_SA_SA_iiiiiiiiiiiDpT3_ ; -- Begin function _ZL11k_bin_bcastIXadL_ZL9op_repeatffEE6__halfffJEEvPKT0_PKT1_PT2_iii15HIP_vector_typeIjLj3EESA_SA_SA_SA_iiiiiiiiiiiDpT3_
	.p2align	8
	.type	_ZL11k_bin_bcastIXadL_ZL9op_repeatffEE6__halfffJEEvPKT0_PKT1_PT2_iii15HIP_vector_typeIjLj3EESA_SA_SA_SA_iiiiiiiiiiiDpT3_,@function
_ZL11k_bin_bcastIXadL_ZL9op_repeatffEE6__halfffJEEvPKT0_PKT1_PT2_iii15HIP_vector_typeIjLj3EESA_SA_SA_SA_iiiiiiiiiiiDpT3_: ; @_ZL11k_bin_bcastIXadL_ZL9op_repeatffEE6__halfffJEEvPKT0_PKT1_PT2_iii15HIP_vector_typeIjLj3EESA_SA_SA_SA_iiiiiiiiiiiDpT3_
; %bb.0:
	s_clause 0x1
	s_load_b64 s[2:3], s[0:1], 0x9c
	s_load_b256 s[16:23], s[0:1], 0x18
	v_bfe_u32 v1, v0, 20, 10
	s_add_u32 s8, s0, 0x90
	s_addc_u32 s9, s1, 0
	s_waitcnt lgkmcnt(0)
	s_and_b32 s3, s3, 0xffff
	s_and_b32 s10, s2, 0xffff
	v_mad_u64_u32 v[4:5], null, s15, s3, v[1:2]
	v_and_b32_e32 v2, 0x3ff, v0
	v_bfe_u32 v5, v0, 10, 10
	s_lshr_b32 s3, s2, 16
	s_delay_alu instid0(VALU_DEP_3) | instskip(NEXT) | instid1(VALU_DEP_1)
	v_mul_hi_u32 v1, v4, s19
	v_add_nc_u32_e32 v1, v4, v1
	s_delay_alu instid0(VALU_DEP_1) | instskip(NEXT) | instid1(VALU_DEP_1)
	v_lshrrev_b32_e32 v3, s20, v1
	v_mul_lo_u32 v6, v3, s21
	v_mad_u64_u32 v[0:1], null, s13, s10, v[2:3]
	s_delay_alu instid0(VALU_DEP_2) | instskip(SKIP_1) | instid1(VALU_DEP_3)
	v_mad_u64_u32 v[1:2], null, s14, s3, v[5:6]
	v_sub_nc_u32_e32 v2, v4, v6
	v_cmp_gt_u32_e32 vcc_lo, s16, v0
	v_cmp_gt_u32_e64 s3, s18, v3
	s_delay_alu instid0(VALU_DEP_3) | instskip(SKIP_1) | instid1(VALU_DEP_1)
	v_cmp_gt_u32_e64 s4, s21, v2
	v_cmp_gt_u32_e64 s2, s17, v1
	s_and_b32 s2, vcc_lo, s2
	s_delay_alu instid0(VALU_DEP_3) | instid1(SALU_CYCLE_1)
	s_and_b32 s2, s2, s3
	s_delay_alu instid0(VALU_DEP_2) | instid1(SALU_CYCLE_1)
	s_and_b32 s2, s2, s4
	s_delay_alu instid0(SALU_CYCLE_1)
	s_and_saveexec_b32 s3, s2
	s_cbranch_execz .LBB7_4
; %bb.1:
	v_cmp_gt_i32_e32 vcc_lo, s16, v0
	s_and_b32 exec_lo, exec_lo, vcc_lo
	s_cbranch_execz .LBB7_4
; %bb.2:
	s_clause 0x3
	s_load_b256 s[24:31], s[0:1], 0x3c
	s_load_b32 s2, s[0:1], 0x5c
	s_load_b128 s[12:15], s[0:1], 0x60
	s_load_b128 s[4:7], s[0:1], 0x7c
	s_waitcnt lgkmcnt(0)
	v_mul_hi_u32 v4, s27, v3
	v_mul_hi_u32 v5, s30, v2
	;; [unrolled: 1-line block ×3, first 2 shown]
	s_delay_alu instid0(VALU_DEP_3) | instskip(NEXT) | instid1(VALU_DEP_3)
	v_add_nc_u32_e32 v4, v3, v4
	v_add_nc_u32_e32 v5, v2, v5
	s_delay_alu instid0(VALU_DEP_3) | instskip(NEXT) | instid1(VALU_DEP_3)
	v_add_nc_u32_e32 v6, v1, v6
	v_lshrrev_b32_e32 v4, s28, v4
	s_delay_alu instid0(VALU_DEP_3) | instskip(NEXT) | instid1(VALU_DEP_3)
	v_lshrrev_b32_e32 v5, s31, v5
	v_lshrrev_b32_e32 v6, s25, v6
	s_delay_alu instid0(VALU_DEP_3) | instskip(NEXT) | instid1(VALU_DEP_3)
	v_mul_lo_u32 v4, v4, s29
	v_mul_lo_u32 v5, v5, s2
	s_delay_alu instid0(VALU_DEP_3)
	v_mul_lo_u32 v6, v6, s26
	s_load_b128 s[24:27], s[0:1], 0x8
	v_mul_lo_u32 v7, v2, s14
	v_mul_lo_u32 v8, v3, s13
	;; [unrolled: 1-line block ×3, first 2 shown]
	s_load_b32 s2, s[8:9], 0x0
	s_load_b32 s0, s[0:1], 0x38
	v_sub_nc_u32_e32 v3, v3, v4
	v_sub_nc_u32_e32 v2, v2, v5
	;; [unrolled: 1-line block ×3, first 2 shown]
	s_mov_b32 s1, 0
	s_delay_alu instid0(VALU_DEP_3) | instskip(NEXT) | instid1(VALU_DEP_3)
	v_mul_lo_u32 v5, v3, s6
	v_mul_lo_u32 v6, v2, s7
	v_mov_b32_e32 v2, 0
	v_mul_lo_u32 v10, v1, s5
	v_add3_u32 v1, v8, v9, v7
	s_delay_alu instid0(VALU_DEP_1) | instskip(NEXT) | instid1(VALU_DEP_3)
	v_lshlrev_b64 v[3:4], 2, v[1:2]
	v_add3_u32 v1, v5, v6, v10
	s_waitcnt lgkmcnt(0)
	s_mul_i32 s2, s2, s10
	s_sub_i32 s3, 0, s0
	s_delay_alu instid0(VALU_DEP_2) | instskip(SKIP_2) | instid1(VALU_DEP_2)
	v_add_co_u32 v3, vcc_lo, s26, v3
	v_lshlrev_b64 v[5:6], 2, v[1:2]
	v_add_co_ci_u32_e32 v4, vcc_lo, s27, v4, vcc_lo
	v_add_co_u32 v5, vcc_lo, s24, v5
	s_delay_alu instid0(VALU_DEP_3)
	v_add_co_ci_u32_e32 v6, vcc_lo, s25, v6, vcc_lo
	.p2align	6
.LBB7_3:                                ; =>This Inner Loop Header: Depth=1
	v_mul_hi_u32 v1, s22, v0
	s_delay_alu instid0(VALU_DEP_1) | instskip(NEXT) | instid1(VALU_DEP_1)
	v_add_nc_u32_e32 v1, v0, v1
	v_lshrrev_b32_e32 v1, s23, v1
	s_delay_alu instid0(VALU_DEP_1) | instskip(NEXT) | instid1(VALU_DEP_1)
	v_mad_u64_u32 v[7:8], null, s3, v1, v[0:1]
	v_mul_lo_u32 v1, v7, s4
	s_delay_alu instid0(VALU_DEP_1) | instskip(SKIP_1) | instid1(VALU_DEP_2)
	v_lshlrev_b64 v[7:8], 2, v[1:2]
	v_ashrrev_i32_e32 v1, 31, v0
	v_add_co_u32 v7, vcc_lo, v5, v7
	s_delay_alu instid0(VALU_DEP_3) | instskip(SKIP_3) | instid1(VALU_DEP_1)
	v_add_co_ci_u32_e32 v8, vcc_lo, v6, v8, vcc_lo
	global_load_b32 v9, v[7:8], off
	v_lshlrev_b64 v[7:8], 2, v[0:1]
	v_add_nc_u32_e32 v0, s2, v0
	v_cmp_le_i32_e32 vcc_lo, s16, v0
	s_delay_alu instid0(VALU_DEP_3) | instskip(NEXT) | instid1(VALU_DEP_1)
	v_add_co_u32 v7, s0, v3, v7
	v_add_co_ci_u32_e64 v8, s0, v4, v8, s0
	s_or_b32 s1, vcc_lo, s1
	s_waitcnt vmcnt(0)
	global_store_b32 v[7:8], v9, off
	s_and_not1_b32 exec_lo, exec_lo, s1
	s_cbranch_execnz .LBB7_3
.LBB7_4:
	s_nop 0
	s_sendmsg sendmsg(MSG_DEALLOC_VGPRS)
	s_endpgm
	.section	.rodata,"a",@progbits
	.p2align	6, 0x0
	.amdhsa_kernel _ZL11k_bin_bcastIXadL_ZL9op_repeatffEE6__halfffJEEvPKT0_PKT1_PT2_iii15HIP_vector_typeIjLj3EESA_SA_SA_SA_iiiiiiiiiiiDpT3_
		.amdhsa_group_segment_fixed_size 0
		.amdhsa_private_segment_fixed_size 0
		.amdhsa_kernarg_size 400
		.amdhsa_user_sgpr_count 13
		.amdhsa_user_sgpr_dispatch_ptr 0
		.amdhsa_user_sgpr_queue_ptr 0
		.amdhsa_user_sgpr_kernarg_segment_ptr 1
		.amdhsa_user_sgpr_dispatch_id 0
		.amdhsa_user_sgpr_private_segment_size 0
		.amdhsa_wavefront_size32 1
		.amdhsa_uses_dynamic_stack 0
		.amdhsa_enable_private_segment 0
		.amdhsa_system_sgpr_workgroup_id_x 1
		.amdhsa_system_sgpr_workgroup_id_y 1
		.amdhsa_system_sgpr_workgroup_id_z 1
		.amdhsa_system_sgpr_workgroup_info 0
		.amdhsa_system_vgpr_workitem_id 2
		.amdhsa_next_free_vgpr 11
		.amdhsa_next_free_sgpr 32
		.amdhsa_reserve_vcc 1
		.amdhsa_float_round_mode_32 0
		.amdhsa_float_round_mode_16_64 0
		.amdhsa_float_denorm_mode_32 3
		.amdhsa_float_denorm_mode_16_64 3
		.amdhsa_dx10_clamp 1
		.amdhsa_ieee_mode 1
		.amdhsa_fp16_overflow 0
		.amdhsa_workgroup_processor_mode 1
		.amdhsa_memory_ordered 1
		.amdhsa_forward_progress 0
		.amdhsa_shared_vgpr_count 0
		.amdhsa_exception_fp_ieee_invalid_op 0
		.amdhsa_exception_fp_denorm_src 0
		.amdhsa_exception_fp_ieee_div_zero 0
		.amdhsa_exception_fp_ieee_overflow 0
		.amdhsa_exception_fp_ieee_underflow 0
		.amdhsa_exception_fp_ieee_inexact 0
		.amdhsa_exception_int_div_zero 0
	.end_amdhsa_kernel
	.section	.text._ZL11k_bin_bcastIXadL_ZL9op_repeatffEE6__halfffJEEvPKT0_PKT1_PT2_iii15HIP_vector_typeIjLj3EESA_SA_SA_SA_iiiiiiiiiiiDpT3_,"axG",@progbits,_ZL11k_bin_bcastIXadL_ZL9op_repeatffEE6__halfffJEEvPKT0_PKT1_PT2_iii15HIP_vector_typeIjLj3EESA_SA_SA_SA_iiiiiiiiiiiDpT3_,comdat
.Lfunc_end7:
	.size	_ZL11k_bin_bcastIXadL_ZL9op_repeatffEE6__halfffJEEvPKT0_PKT1_PT2_iii15HIP_vector_typeIjLj3EESA_SA_SA_SA_iiiiiiiiiiiDpT3_, .Lfunc_end7-_ZL11k_bin_bcastIXadL_ZL9op_repeatffEE6__halfffJEEvPKT0_PKT1_PT2_iii15HIP_vector_typeIjLj3EESA_SA_SA_SA_iiiiiiiiiiiDpT3_
                                        ; -- End function
	.section	.AMDGPU.csdata,"",@progbits
; Kernel info:
; codeLenInByte = 680
; NumSgprs: 34
; NumVgprs: 11
; ScratchSize: 0
; MemoryBound: 0
; FloatMode: 240
; IeeeMode: 1
; LDSByteSize: 0 bytes/workgroup (compile time only)
; SGPRBlocks: 4
; VGPRBlocks: 1
; NumSGPRsForWavesPerEU: 34
; NumVGPRsForWavesPerEU: 11
; Occupancy: 16
; WaveLimiterHint : 1
; COMPUTE_PGM_RSRC2:SCRATCH_EN: 0
; COMPUTE_PGM_RSRC2:USER_SGPR: 13
; COMPUTE_PGM_RSRC2:TRAP_HANDLER: 0
; COMPUTE_PGM_RSRC2:TGID_X_EN: 1
; COMPUTE_PGM_RSRC2:TGID_Y_EN: 1
; COMPUTE_PGM_RSRC2:TGID_Z_EN: 1
; COMPUTE_PGM_RSRC2:TIDIG_COMP_CNT: 2
	.section	.text._ZL19k_bin_bcast_unravelIXadL_ZL6op_addffEEfffJPKfEEvPKT0_PKT1_PT2_15HIP_vector_typeIjLj3EESB_SB_jSB_SB_SB_SB_SB_SB_iiiiiiiiiiiDpT3_,"axG",@progbits,_ZL19k_bin_bcast_unravelIXadL_ZL6op_addffEEfffJPKfEEvPKT0_PKT1_PT2_15HIP_vector_typeIjLj3EESB_SB_jSB_SB_SB_SB_SB_SB_iiiiiiiiiiiDpT3_,comdat
	.globl	_ZL19k_bin_bcast_unravelIXadL_ZL6op_addffEEfffJPKfEEvPKT0_PKT1_PT2_15HIP_vector_typeIjLj3EESB_SB_jSB_SB_SB_SB_SB_SB_iiiiiiiiiiiDpT3_ ; -- Begin function _ZL19k_bin_bcast_unravelIXadL_ZL6op_addffEEfffJPKfEEvPKT0_PKT1_PT2_15HIP_vector_typeIjLj3EESB_SB_jSB_SB_SB_SB_SB_SB_iiiiiiiiiiiDpT3_
	.p2align	8
	.type	_ZL19k_bin_bcast_unravelIXadL_ZL6op_addffEEfffJPKfEEvPKT0_PKT1_PT2_15HIP_vector_typeIjLj3EESB_SB_jSB_SB_SB_SB_SB_SB_iiiiiiiiiiiDpT3_,@function
_ZL19k_bin_bcast_unravelIXadL_ZL6op_addffEEfffJPKfEEvPKT0_PKT1_PT2_15HIP_vector_typeIjLj3EESB_SB_jSB_SB_SB_SB_SB_SB_iiiiiiiiiiiDpT3_: ; @_ZL19k_bin_bcast_unravelIXadL_ZL6op_addffEEfffJPKfEEvPKT0_PKT1_PT2_15HIP_vector_typeIjLj3EESB_SB_jSB_SB_SB_SB_SB_SB_iiiiiiiiiiiDpT3_
; %bb.0:
	s_clause 0x1
	s_load_b32 s2, s[0:1], 0xcc
	s_load_b256 s[4:11], s[0:1], 0x38
	s_waitcnt lgkmcnt(0)
	s_and_b32 s2, s2, 0xffff
	s_delay_alu instid0(SALU_CYCLE_1) | instskip(SKIP_3) | instid1(VALU_DEP_1)
	v_mad_u64_u32 v[2:3], null, s15, s2, v[0:1]
	s_clause 0x1
	s_load_b128 s[12:15], s[0:1], 0x18
	s_load_b32 s2, s[0:1], 0x2c
	v_mul_hi_u32 v0, v2, s6
	s_delay_alu instid0(VALU_DEP_1) | instskip(NEXT) | instid1(VALU_DEP_1)
	v_add_nc_u32_e32 v0, v2, v0
	v_lshrrev_b32_e32 v1, s7, v0
	s_delay_alu instid0(VALU_DEP_1) | instskip(NEXT) | instid1(VALU_DEP_1)
	v_mul_lo_u32 v0, v1, s8
	v_sub_nc_u32_e32 v0, v2, v0
	s_delay_alu instid0(VALU_DEP_1) | instskip(NEXT) | instid1(VALU_DEP_1)
	v_mul_hi_u32 v2, v0, s9
	v_add_nc_u32_e32 v2, v0, v2
	s_delay_alu instid0(VALU_DEP_1) | instskip(NEXT) | instid1(VALU_DEP_1)
	v_lshrrev_b32_e32 v2, s10, v2
	v_mul_lo_u32 v3, v2, s11
	v_cmp_gt_u32_e64 s3, s4, v2
	v_cmp_gt_u32_e64 s4, s5, v1
	s_delay_alu instid0(VALU_DEP_3) | instskip(SKIP_1) | instid1(VALU_DEP_1)
	v_sub_nc_u32_e32 v0, v0, v3
	s_waitcnt lgkmcnt(0)
	v_mul_hi_u32 v3, v0, s12
	s_delay_alu instid0(VALU_DEP_1) | instskip(NEXT) | instid1(VALU_DEP_1)
	v_add_nc_u32_e32 v3, v0, v3
	v_lshrrev_b32_e32 v3, s13, v3
	s_delay_alu instid0(VALU_DEP_1) | instskip(SKIP_1) | instid1(VALU_DEP_2)
	v_mul_lo_u32 v4, v3, s14
	v_cmp_gt_u32_e64 s2, s2, v3
	v_sub_nc_u32_e32 v0, v0, v4
	s_delay_alu instid0(VALU_DEP_1) | instskip(NEXT) | instid1(VALU_DEP_3)
	v_cmp_gt_u32_e32 vcc_lo, s14, v0
	s_and_b32 s2, vcc_lo, s2
	s_delay_alu instid0(SALU_CYCLE_1) | instskip(NEXT) | instid1(SALU_CYCLE_1)
	s_and_b32 s2, s2, s3
	s_and_b32 s2, s4, s2
	s_delay_alu instid0(SALU_CYCLE_1)
	s_and_saveexec_b32 s3, s2
	s_cbranch_execz .LBB8_5
; %bb.1:
	s_clause 0x4
	s_load_b64 s[2:3], s[0:1], 0x0
	s_load_b128 s[20:23], s[0:1], 0xa8
	s_load_b256 s[4:11], s[0:1], 0x88
	s_load_b128 s[24:27], s[0:1], 0x78
	s_load_b256 s[12:19], s[0:1], 0x58
	s_waitcnt lgkmcnt(0)
	s_cmp_eq_u64 s[2:3], 0
	s_cbranch_scc1 .LBB8_3
; %bb.2:
	v_mul_lo_u32 v4, v1, s10
	v_mul_lo_u32 v6, v2, s9
	;; [unrolled: 1-line block ×3, first 2 shown]
	v_mov_b32_e32 v5, 0
	s_delay_alu instid0(VALU_DEP_2) | instskip(NEXT) | instid1(VALU_DEP_1)
	v_add3_u32 v4, v6, v4, v7
	v_lshlrev_b64 v[6:7], 2, v[4:5]
	v_mul_lo_u32 v4, v0, s7
	s_delay_alu instid0(VALU_DEP_2) | instskip(NEXT) | instid1(VALU_DEP_3)
	v_add_co_u32 v6, vcc_lo, s2, v6
	v_add_co_ci_u32_e32 v7, vcc_lo, s3, v7, vcc_lo
	s_delay_alu instid0(VALU_DEP_3) | instskip(NEXT) | instid1(VALU_DEP_1)
	v_lshlrev_b64 v[4:5], 2, v[4:5]
	v_add_co_u32 v4, vcc_lo, v6, v4
	s_delay_alu instid0(VALU_DEP_2)
	v_add_co_ci_u32_e32 v5, vcc_lo, v7, v5, vcc_lo
	global_load_b32 v4, v[4:5], off
	s_branch .LBB8_4
.LBB8_3:
	v_mov_b32_e32 v4, 0
.LBB8_4:
	v_mul_hi_u32 v5, s25, v1
	v_mul_hi_u32 v6, s18, v2
	;; [unrolled: 1-line block ×4, first 2 shown]
	s_clause 0x1
	s_load_b64 s[2:3], s[0:1], 0xb8
	s_load_b64 s[0:1], s[0:1], 0x10
	s_delay_alu instid0(VALU_DEP_4) | instskip(NEXT) | instid1(VALU_DEP_4)
	v_add_nc_u32_e32 v5, v1, v5
	v_add_nc_u32_e32 v6, v2, v6
	s_delay_alu instid0(VALU_DEP_4) | instskip(NEXT) | instid1(VALU_DEP_4)
	v_add_nc_u32_e32 v7, v3, v7
	v_add_nc_u32_e32 v8, v0, v8
	s_delay_alu instid0(VALU_DEP_4) | instskip(NEXT) | instid1(VALU_DEP_4)
	v_lshrrev_b32_e32 v5, s26, v5
	v_lshrrev_b32_e32 v6, s19, v6
	s_delay_alu instid0(VALU_DEP_4) | instskip(NEXT) | instid1(VALU_DEP_4)
	v_lshrrev_b32_e32 v7, s16, v7
	v_lshrrev_b32_e32 v8, s13, v8
	s_delay_alu instid0(VALU_DEP_4) | instskip(NEXT) | instid1(VALU_DEP_4)
	v_mul_lo_u32 v5, v5, s27
	v_mul_lo_u32 v6, v6, s24
	s_delay_alu instid0(VALU_DEP_4) | instskip(NEXT) | instid1(VALU_DEP_4)
	v_mul_lo_u32 v7, v7, s17
	v_mul_lo_u32 v8, v8, s14
	s_delay_alu instid0(VALU_DEP_4) | instskip(NEXT) | instid1(VALU_DEP_4)
	v_sub_nc_u32_e32 v5, v1, v5
	v_sub_nc_u32_e32 v6, v2, v6
	s_delay_alu instid0(VALU_DEP_4) | instskip(NEXT) | instid1(VALU_DEP_4)
	v_sub_nc_u32_e32 v7, v3, v7
	v_sub_nc_u32_e32 v8, v0, v8
	v_mul_lo_u32 v1, v1, s6
	v_mul_lo_u32 v5, v5, s22
	;; [unrolled: 1-line block ×5, first 2 shown]
	s_delay_alu instid0(VALU_DEP_2) | instskip(SKIP_1) | instid1(VALU_DEP_2)
	v_add3_u32 v5, v6, v5, v7
	v_mul_lo_u32 v7, v8, s11
	v_ashrrev_i32_e32 v6, 31, v5
	s_delay_alu instid0(VALU_DEP_2) | instskip(NEXT) | instid1(VALU_DEP_2)
	v_ashrrev_i32_e32 v8, 31, v7
	v_lshlrev_b64 v[5:6], 2, v[5:6]
	s_delay_alu instid0(VALU_DEP_2) | instskip(SKIP_1) | instid1(VALU_DEP_2)
	v_lshlrev_b64 v[7:8], 2, v[7:8]
	s_waitcnt lgkmcnt(0)
	v_add_co_u32 v5, vcc_lo, s2, v5
	s_delay_alu instid0(VALU_DEP_3) | instskip(NEXT) | instid1(VALU_DEP_2)
	v_add_co_ci_u32_e32 v6, vcc_lo, s3, v6, vcc_lo
	v_add_co_u32 v5, vcc_lo, v5, v7
	s_delay_alu instid0(VALU_DEP_2) | instskip(SKIP_3) | instid1(VALU_DEP_2)
	v_add_co_ci_u32_e32 v6, vcc_lo, v6, v8, vcc_lo
	global_load_b32 v5, v[5:6], off
	v_mul_lo_u32 v6, v3, s4
	v_mov_b32_e32 v3, 0
	v_add3_u32 v2, v2, v1, v6
	s_delay_alu instid0(VALU_DEP_2) | instskip(NEXT) | instid1(VALU_DEP_2)
	v_mov_b32_e32 v1, v3
	v_lshlrev_b64 v[2:3], 2, v[2:3]
	s_delay_alu instid0(VALU_DEP_2) | instskip(NEXT) | instid1(VALU_DEP_2)
	v_lshlrev_b64 v[0:1], 2, v[0:1]
	v_add_co_u32 v2, vcc_lo, s0, v2
	s_delay_alu instid0(VALU_DEP_3) | instskip(NEXT) | instid1(VALU_DEP_2)
	v_add_co_ci_u32_e32 v3, vcc_lo, s1, v3, vcc_lo
	v_add_co_u32 v0, vcc_lo, v2, v0
	s_delay_alu instid0(VALU_DEP_2)
	v_add_co_ci_u32_e32 v1, vcc_lo, v3, v1, vcc_lo
	s_waitcnt vmcnt(0)
	v_add_f32_e32 v4, v4, v5
	global_store_b32 v[0:1], v4, off
.LBB8_5:
	s_nop 0
	s_sendmsg sendmsg(MSG_DEALLOC_VGPRS)
	s_endpgm
	.section	.rodata,"a",@progbits
	.p2align	6, 0x0
	.amdhsa_kernel _ZL19k_bin_bcast_unravelIXadL_ZL6op_addffEEfffJPKfEEvPKT0_PKT1_PT2_15HIP_vector_typeIjLj3EESB_SB_jSB_SB_SB_SB_SB_SB_iiiiiiiiiiiDpT3_
		.amdhsa_group_segment_fixed_size 0
		.amdhsa_private_segment_fixed_size 0
		.amdhsa_kernarg_size 448
		.amdhsa_user_sgpr_count 15
		.amdhsa_user_sgpr_dispatch_ptr 0
		.amdhsa_user_sgpr_queue_ptr 0
		.amdhsa_user_sgpr_kernarg_segment_ptr 1
		.amdhsa_user_sgpr_dispatch_id 0
		.amdhsa_user_sgpr_private_segment_size 0
		.amdhsa_wavefront_size32 1
		.amdhsa_uses_dynamic_stack 0
		.amdhsa_enable_private_segment 0
		.amdhsa_system_sgpr_workgroup_id_x 1
		.amdhsa_system_sgpr_workgroup_id_y 0
		.amdhsa_system_sgpr_workgroup_id_z 0
		.amdhsa_system_sgpr_workgroup_info 0
		.amdhsa_system_vgpr_workitem_id 0
		.amdhsa_next_free_vgpr 9
		.amdhsa_next_free_sgpr 28
		.amdhsa_reserve_vcc 1
		.amdhsa_float_round_mode_32 0
		.amdhsa_float_round_mode_16_64 0
		.amdhsa_float_denorm_mode_32 3
		.amdhsa_float_denorm_mode_16_64 3
		.amdhsa_dx10_clamp 1
		.amdhsa_ieee_mode 1
		.amdhsa_fp16_overflow 0
		.amdhsa_workgroup_processor_mode 1
		.amdhsa_memory_ordered 1
		.amdhsa_forward_progress 0
		.amdhsa_shared_vgpr_count 0
		.amdhsa_exception_fp_ieee_invalid_op 0
		.amdhsa_exception_fp_denorm_src 0
		.amdhsa_exception_fp_ieee_div_zero 0
		.amdhsa_exception_fp_ieee_overflow 0
		.amdhsa_exception_fp_ieee_underflow 0
		.amdhsa_exception_fp_ieee_inexact 0
		.amdhsa_exception_int_div_zero 0
	.end_amdhsa_kernel
	.section	.text._ZL19k_bin_bcast_unravelIXadL_ZL6op_addffEEfffJPKfEEvPKT0_PKT1_PT2_15HIP_vector_typeIjLj3EESB_SB_jSB_SB_SB_SB_SB_SB_iiiiiiiiiiiDpT3_,"axG",@progbits,_ZL19k_bin_bcast_unravelIXadL_ZL6op_addffEEfffJPKfEEvPKT0_PKT1_PT2_15HIP_vector_typeIjLj3EESB_SB_jSB_SB_SB_SB_SB_SB_iiiiiiiiiiiDpT3_,comdat
.Lfunc_end8:
	.size	_ZL19k_bin_bcast_unravelIXadL_ZL6op_addffEEfffJPKfEEvPKT0_PKT1_PT2_15HIP_vector_typeIjLj3EESB_SB_jSB_SB_SB_SB_SB_SB_iiiiiiiiiiiDpT3_, .Lfunc_end8-_ZL19k_bin_bcast_unravelIXadL_ZL6op_addffEEfffJPKfEEvPKT0_PKT1_PT2_15HIP_vector_typeIjLj3EESB_SB_jSB_SB_SB_SB_SB_SB_iiiiiiiiiiiDpT3_
                                        ; -- End function
	.section	.AMDGPU.csdata,"",@progbits
; Kernel info:
; codeLenInByte = 820
; NumSgprs: 30
; NumVgprs: 9
; ScratchSize: 0
; MemoryBound: 0
; FloatMode: 240
; IeeeMode: 1
; LDSByteSize: 0 bytes/workgroup (compile time only)
; SGPRBlocks: 3
; VGPRBlocks: 1
; NumSGPRsForWavesPerEU: 30
; NumVGPRsForWavesPerEU: 9
; Occupancy: 16
; WaveLimiterHint : 1
; COMPUTE_PGM_RSRC2:SCRATCH_EN: 0
; COMPUTE_PGM_RSRC2:USER_SGPR: 15
; COMPUTE_PGM_RSRC2:TRAP_HANDLER: 0
; COMPUTE_PGM_RSRC2:TGID_X_EN: 1
; COMPUTE_PGM_RSRC2:TGID_Y_EN: 0
; COMPUTE_PGM_RSRC2:TGID_Z_EN: 0
; COMPUTE_PGM_RSRC2:TIDIG_COMP_CNT: 0
	.section	.text._ZL11k_bin_bcastIXadL_ZL6op_addffEEfffJPKfEEvPKT0_PKT1_PT2_iii15HIP_vector_typeIjLj3EESB_SB_SB_SB_iiiiiiiiiiiDpT3_,"axG",@progbits,_ZL11k_bin_bcastIXadL_ZL6op_addffEEfffJPKfEEvPKT0_PKT1_PT2_iii15HIP_vector_typeIjLj3EESB_SB_SB_SB_iiiiiiiiiiiDpT3_,comdat
	.globl	_ZL11k_bin_bcastIXadL_ZL6op_addffEEfffJPKfEEvPKT0_PKT1_PT2_iii15HIP_vector_typeIjLj3EESB_SB_SB_SB_iiiiiiiiiiiDpT3_ ; -- Begin function _ZL11k_bin_bcastIXadL_ZL6op_addffEEfffJPKfEEvPKT0_PKT1_PT2_iii15HIP_vector_typeIjLj3EESB_SB_SB_SB_iiiiiiiiiiiDpT3_
	.p2align	8
	.type	_ZL11k_bin_bcastIXadL_ZL6op_addffEEfffJPKfEEvPKT0_PKT1_PT2_iii15HIP_vector_typeIjLj3EESB_SB_SB_SB_iiiiiiiiiiiDpT3_,@function
_ZL11k_bin_bcastIXadL_ZL6op_addffEEfffJPKfEEvPKT0_PKT1_PT2_iii15HIP_vector_typeIjLj3EESB_SB_SB_SB_iiiiiiiiiiiDpT3_: ; @_ZL11k_bin_bcastIXadL_ZL6op_addffEEfffJPKfEEvPKT0_PKT1_PT2_iii15HIP_vector_typeIjLj3EESB_SB_SB_SB_iiiiiiiiiiiDpT3_
; %bb.0:
	s_clause 0x1
	s_load_b64 s[2:3], s[0:1], 0xa4
	s_load_b256 s[16:23], s[0:1], 0x18
	v_bfe_u32 v1, v0, 20, 10
	s_add_u32 s24, s0, 0x98
	s_addc_u32 s25, s1, 0
	v_bfe_u32 v6, v0, 10, 10
	s_waitcnt lgkmcnt(0)
	s_and_b32 s3, s3, 0xffff
	s_and_b32 s12, s2, 0xffff
	v_mad_u64_u32 v[2:3], null, s15, s3, v[1:2]
	v_and_b32_e32 v3, 0x3ff, v0
	s_lshr_b32 s3, s2, 16
	s_delay_alu instid0(VALU_DEP_2) | instskip(NEXT) | instid1(VALU_DEP_1)
	v_mul_hi_u32 v1, v2, s19
	v_add_nc_u32_e32 v1, v2, v1
	s_delay_alu instid0(VALU_DEP_1) | instskip(SKIP_2) | instid1(VALU_DEP_3)
	v_lshrrev_b32_e32 v5, s20, v1
	v_mad_u64_u32 v[0:1], null, s13, s12, v[3:4]
	v_mad_u64_u32 v[3:4], null, s14, s3, v[6:7]
	v_mul_lo_u32 v1, v5, s21
	v_cmp_gt_u32_e64 s3, s18, v5
	s_delay_alu instid0(VALU_DEP_4) | instskip(NEXT) | instid1(VALU_DEP_4)
	v_cmp_gt_u32_e32 vcc_lo, s16, v0
	v_cmp_gt_u32_e64 s2, s17, v3
	s_delay_alu instid0(VALU_DEP_4) | instskip(NEXT) | instid1(VALU_DEP_2)
	v_sub_nc_u32_e32 v4, v2, v1
	s_and_b32 s2, vcc_lo, s2
	s_delay_alu instid0(SALU_CYCLE_1) | instskip(NEXT) | instid1(VALU_DEP_1)
	s_and_b32 s2, s2, s3
	v_cmp_gt_u32_e64 s4, s21, v4
	s_delay_alu instid0(VALU_DEP_1) | instskip(NEXT) | instid1(SALU_CYCLE_1)
	s_and_b32 s2, s2, s4
	s_and_saveexec_b32 s3, s2
	s_cbranch_execz .LBB9_6
; %bb.1:
	v_cmp_gt_i32_e32 vcc_lo, s16, v0
	s_and_b32 exec_lo, exec_lo, vcc_lo
	s_cbranch_execz .LBB9_6
; %bb.2:
	s_clause 0x2
	s_load_b256 s[36:43], s[0:1], 0x3c
	s_load_b256 s[4:11], s[0:1], 0x60
	s_load_b32 s13, s[0:1], 0x5c
	s_load_b32 s17, s[24:25], 0x0
	s_clause 0x4
	s_load_b128 s[24:27], s[0:1], 0x80
	s_load_b64 s[2:3], s[0:1], 0x0
	s_load_b32 s18, s[0:1], 0x38
	s_load_b64 s[14:15], s[0:1], 0x10
	s_load_b64 s[0:1], s[0:1], 0x90
	s_waitcnt lgkmcnt(0)
	v_mul_hi_u32 v1, s39, v5
	v_mov_b32_e32 v2, 0
	v_mul_hi_u32 v6, s42, v4
	v_mul_hi_u32 v7, s36, v3
	v_mul_lo_u32 v8, v4, s10
	v_mul_lo_u32 v9, v5, s9
	;; [unrolled: 1-line block ×4, first 2 shown]
	v_add_nc_u32_e32 v1, v5, v1
	v_mul_lo_u32 v12, v4, s6
	v_add_nc_u32_e32 v6, v4, v6
	v_add_nc_u32_e32 v7, v3, v7
	v_mul_lo_u32 v14, v3, s4
	v_lshrrev_b32_e32 v1, s40, v1
	s_cmp_lg_u64 s[2:3], 0
	s_delay_alu instid0(VALU_DEP_3) | instskip(NEXT) | instid1(VALU_DEP_2)
	v_lshrrev_b32_e32 v7, s37, v7
	v_mul_lo_u32 v11, v1, s41
	v_add3_u32 v1, v9, v10, v8
	s_delay_alu instid0(VALU_DEP_3) | instskip(NEXT) | instid1(VALU_DEP_3)
	v_mul_lo_u32 v7, v7, s38
	v_sub_nc_u32_e32 v8, v5, v11
	v_mov_b32_e32 v5, v2
	v_lshrrev_b32_e32 v6, s43, v6
	s_delay_alu instid0(VALU_DEP_4) | instskip(NEXT) | instid1(VALU_DEP_2)
	v_sub_nc_u32_e32 v3, v3, v7
	v_mul_lo_u32 v6, v6, s13
	s_delay_alu instid0(VALU_DEP_2) | instskip(SKIP_1) | instid1(VALU_DEP_3)
	v_mul_lo_u32 v9, v3, s24
	v_mul_lo_u32 v3, s7, v0
	v_sub_nc_u32_e32 v4, v4, v6
	v_lshlrev_b64 v[6:7], 2, v[1:2]
	v_mul_lo_u32 v1, v8, s25
	s_delay_alu instid0(VALU_DEP_3) | instskip(SKIP_1) | instid1(VALU_DEP_4)
	v_mul_lo_u32 v8, v4, s26
	v_add3_u32 v4, v13, v14, v12
	v_add_co_u32 v10, vcc_lo, s2, v6
	v_add_co_ci_u32_e32 v6, vcc_lo, s3, v7, vcc_lo
	s_cselect_b32 vcc_lo, -1, 0
	s_mul_i32 s2, s17, s12
	s_delay_alu instid0(VALU_DEP_4) | instskip(NEXT) | instid1(VALU_DEP_2)
	v_add3_u32 v1, v1, v8, v9
	v_cndmask_b32_e32 v6, 0, v6, vcc_lo
	v_lshlrev_b64 v[7:8], 2, v[4:5]
	v_cndmask_b32_e32 v5, 0, v10, vcc_lo
	s_mov_b32 s3, 0
	v_lshlrev_b64 v[9:10], 2, v[1:2]
	s_mul_i32 s4, s2, s7
	s_sub_i32 s5, 0, s18
	v_add_co_u32 v7, vcc_lo, s14, v7
	v_add_co_ci_u32_e32 v8, vcc_lo, s15, v8, vcc_lo
	s_delay_alu instid0(VALU_DEP_3)
	v_add_co_u32 v9, s0, s0, v9
	v_cmp_ne_u64_e32 vcc_lo, 0, v[5:6]
	v_add_co_ci_u32_e64 v10, s0, s1, v10, s0
	s_set_inst_prefetch_distance 0x1
	s_branch .LBB9_4
	.p2align	6
.LBB9_3:                                ;   in Loop: Header=BB9_4 Depth=1
	s_or_b32 exec_lo, exec_lo, s1
	v_mul_hi_u32 v1, s22, v0
	v_add_nc_u32_e32 v3, s4, v3
	s_delay_alu instid0(VALU_DEP_2) | instskip(NEXT) | instid1(VALU_DEP_1)
	v_add_nc_u32_e32 v1, v0, v1
	v_lshrrev_b32_e32 v1, s23, v1
	s_delay_alu instid0(VALU_DEP_1) | instskip(NEXT) | instid1(VALU_DEP_1)
	v_mad_u64_u32 v[11:12], null, s5, v1, v[0:1]
	v_mul_lo_u32 v1, v11, s11
	s_delay_alu instid0(VALU_DEP_1) | instskip(SKIP_1) | instid1(VALU_DEP_2)
	v_lshlrev_b64 v[11:12], 2, v[1:2]
	v_ashrrev_i32_e32 v1, 31, v0
	v_add_co_u32 v11, s0, v9, v11
	s_delay_alu instid0(VALU_DEP_1) | instskip(SKIP_3) | instid1(VALU_DEP_2)
	v_add_co_ci_u32_e64 v12, s0, v10, v12, s0
	global_load_b32 v13, v[11:12], off
	v_lshlrev_b64 v[11:12], 2, v[0:1]
	v_add_nc_u32_e32 v0, s2, v0
	v_add_co_u32 v11, s1, v7, v11
	s_delay_alu instid0(VALU_DEP_1)
	v_add_co_ci_u32_e64 v12, s1, v8, v12, s1
	s_waitcnt vmcnt(0)
	v_add_f32_e32 v1, v4, v13
	v_cmp_le_i32_e64 s0, s16, v0
	global_store_b32 v[11:12], v1, off
	s_or_b32 s3, s0, s3
	s_delay_alu instid0(SALU_CYCLE_1)
	s_and_not1_b32 exec_lo, exec_lo, s3
	s_cbranch_execz .LBB9_6
.LBB9_4:                                ; =>This Inner Loop Header: Depth=1
	v_mov_b32_e32 v4, 0
	s_and_saveexec_b32 s1, vcc_lo
	s_cbranch_execz .LBB9_3
; %bb.5:                                ;   in Loop: Header=BB9_4 Depth=1
	v_ashrrev_i32_e32 v4, 31, v3
	s_delay_alu instid0(VALU_DEP_1) | instskip(NEXT) | instid1(VALU_DEP_1)
	v_lshlrev_b64 v[11:12], 2, v[3:4]
	v_add_co_u32 v11, s0, v5, v11
	s_delay_alu instid0(VALU_DEP_1)
	v_add_co_ci_u32_e64 v12, s0, v6, v12, s0
	global_load_b32 v4, v[11:12], off
	s_branch .LBB9_3
.LBB9_6:
	s_set_inst_prefetch_distance 0x2
	s_nop 0
	s_sendmsg sendmsg(MSG_DEALLOC_VGPRS)
	s_endpgm
	.section	.rodata,"a",@progbits
	.p2align	6, 0x0
	.amdhsa_kernel _ZL11k_bin_bcastIXadL_ZL6op_addffEEfffJPKfEEvPKT0_PKT1_PT2_iii15HIP_vector_typeIjLj3EESB_SB_SB_SB_iiiiiiiiiiiDpT3_
		.amdhsa_group_segment_fixed_size 0
		.amdhsa_private_segment_fixed_size 0
		.amdhsa_kernarg_size 408
		.amdhsa_user_sgpr_count 13
		.amdhsa_user_sgpr_dispatch_ptr 0
		.amdhsa_user_sgpr_queue_ptr 0
		.amdhsa_user_sgpr_kernarg_segment_ptr 1
		.amdhsa_user_sgpr_dispatch_id 0
		.amdhsa_user_sgpr_private_segment_size 0
		.amdhsa_wavefront_size32 1
		.amdhsa_uses_dynamic_stack 0
		.amdhsa_enable_private_segment 0
		.amdhsa_system_sgpr_workgroup_id_x 1
		.amdhsa_system_sgpr_workgroup_id_y 1
		.amdhsa_system_sgpr_workgroup_id_z 1
		.amdhsa_system_sgpr_workgroup_info 0
		.amdhsa_system_vgpr_workitem_id 2
		.amdhsa_next_free_vgpr 15
		.amdhsa_next_free_sgpr 44
		.amdhsa_reserve_vcc 1
		.amdhsa_float_round_mode_32 0
		.amdhsa_float_round_mode_16_64 0
		.amdhsa_float_denorm_mode_32 3
		.amdhsa_float_denorm_mode_16_64 3
		.amdhsa_dx10_clamp 1
		.amdhsa_ieee_mode 1
		.amdhsa_fp16_overflow 0
		.amdhsa_workgroup_processor_mode 1
		.amdhsa_memory_ordered 1
		.amdhsa_forward_progress 0
		.amdhsa_shared_vgpr_count 0
		.amdhsa_exception_fp_ieee_invalid_op 0
		.amdhsa_exception_fp_denorm_src 0
		.amdhsa_exception_fp_ieee_div_zero 0
		.amdhsa_exception_fp_ieee_overflow 0
		.amdhsa_exception_fp_ieee_underflow 0
		.amdhsa_exception_fp_ieee_inexact 0
		.amdhsa_exception_int_div_zero 0
	.end_amdhsa_kernel
	.section	.text._ZL11k_bin_bcastIXadL_ZL6op_addffEEfffJPKfEEvPKT0_PKT1_PT2_iii15HIP_vector_typeIjLj3EESB_SB_SB_SB_iiiiiiiiiiiDpT3_,"axG",@progbits,_ZL11k_bin_bcastIXadL_ZL6op_addffEEfffJPKfEEvPKT0_PKT1_PT2_iii15HIP_vector_typeIjLj3EESB_SB_SB_SB_iiiiiiiiiiiDpT3_,comdat
.Lfunc_end9:
	.size	_ZL11k_bin_bcastIXadL_ZL6op_addffEEfffJPKfEEvPKT0_PKT1_PT2_iii15HIP_vector_typeIjLj3EESB_SB_SB_SB_iiiiiiiiiiiDpT3_, .Lfunc_end9-_ZL11k_bin_bcastIXadL_ZL6op_addffEEfffJPKfEEvPKT0_PKT1_PT2_iii15HIP_vector_typeIjLj3EESB_SB_SB_SB_iiiiiiiiiiiDpT3_
                                        ; -- End function
	.section	.AMDGPU.csdata,"",@progbits
; Kernel info:
; codeLenInByte = 872
; NumSgprs: 46
; NumVgprs: 15
; ScratchSize: 0
; MemoryBound: 0
; FloatMode: 240
; IeeeMode: 1
; LDSByteSize: 0 bytes/workgroup (compile time only)
; SGPRBlocks: 5
; VGPRBlocks: 1
; NumSGPRsForWavesPerEU: 46
; NumVGPRsForWavesPerEU: 15
; Occupancy: 16
; WaveLimiterHint : 1
; COMPUTE_PGM_RSRC2:SCRATCH_EN: 0
; COMPUTE_PGM_RSRC2:USER_SGPR: 13
; COMPUTE_PGM_RSRC2:TRAP_HANDLER: 0
; COMPUTE_PGM_RSRC2:TGID_X_EN: 1
; COMPUTE_PGM_RSRC2:TGID_Y_EN: 1
; COMPUTE_PGM_RSRC2:TGID_Z_EN: 1
; COMPUTE_PGM_RSRC2:TIDIG_COMP_CNT: 2
	.section	.text._ZL19k_bin_bcast_unravelIXadL_ZL6op_addffEE6__halfS0_S0_JPKS0_EEvPKT0_PKT1_PT2_15HIP_vector_typeIjLj3EESC_SC_jSC_SC_SC_SC_SC_SC_iiiiiiiiiiiDpT3_,"axG",@progbits,_ZL19k_bin_bcast_unravelIXadL_ZL6op_addffEE6__halfS0_S0_JPKS0_EEvPKT0_PKT1_PT2_15HIP_vector_typeIjLj3EESC_SC_jSC_SC_SC_SC_SC_SC_iiiiiiiiiiiDpT3_,comdat
	.globl	_ZL19k_bin_bcast_unravelIXadL_ZL6op_addffEE6__halfS0_S0_JPKS0_EEvPKT0_PKT1_PT2_15HIP_vector_typeIjLj3EESC_SC_jSC_SC_SC_SC_SC_SC_iiiiiiiiiiiDpT3_ ; -- Begin function _ZL19k_bin_bcast_unravelIXadL_ZL6op_addffEE6__halfS0_S0_JPKS0_EEvPKT0_PKT1_PT2_15HIP_vector_typeIjLj3EESC_SC_jSC_SC_SC_SC_SC_SC_iiiiiiiiiiiDpT3_
	.p2align	8
	.type	_ZL19k_bin_bcast_unravelIXadL_ZL6op_addffEE6__halfS0_S0_JPKS0_EEvPKT0_PKT1_PT2_15HIP_vector_typeIjLj3EESC_SC_jSC_SC_SC_SC_SC_SC_iiiiiiiiiiiDpT3_,@function
_ZL19k_bin_bcast_unravelIXadL_ZL6op_addffEE6__halfS0_S0_JPKS0_EEvPKT0_PKT1_PT2_15HIP_vector_typeIjLj3EESC_SC_jSC_SC_SC_SC_SC_SC_iiiiiiiiiiiDpT3_: ; @_ZL19k_bin_bcast_unravelIXadL_ZL6op_addffEE6__halfS0_S0_JPKS0_EEvPKT0_PKT1_PT2_15HIP_vector_typeIjLj3EESC_SC_jSC_SC_SC_SC_SC_SC_iiiiiiiiiiiDpT3_
; %bb.0:
	s_clause 0x1
	s_load_b32 s2, s[0:1], 0xcc
	s_load_b256 s[4:11], s[0:1], 0x38
	s_waitcnt lgkmcnt(0)
	s_and_b32 s2, s2, 0xffff
	s_delay_alu instid0(SALU_CYCLE_1) | instskip(SKIP_3) | instid1(VALU_DEP_1)
	v_mad_u64_u32 v[2:3], null, s15, s2, v[0:1]
	s_clause 0x1
	s_load_b128 s[12:15], s[0:1], 0x18
	s_load_b32 s2, s[0:1], 0x2c
	v_mul_hi_u32 v0, v2, s6
	s_delay_alu instid0(VALU_DEP_1) | instskip(NEXT) | instid1(VALU_DEP_1)
	v_add_nc_u32_e32 v0, v2, v0
	v_lshrrev_b32_e32 v1, s7, v0
	s_delay_alu instid0(VALU_DEP_1) | instskip(NEXT) | instid1(VALU_DEP_1)
	v_mul_lo_u32 v0, v1, s8
	v_sub_nc_u32_e32 v0, v2, v0
	s_delay_alu instid0(VALU_DEP_1) | instskip(NEXT) | instid1(VALU_DEP_1)
	v_mul_hi_u32 v2, v0, s9
	v_add_nc_u32_e32 v2, v0, v2
	s_delay_alu instid0(VALU_DEP_1) | instskip(NEXT) | instid1(VALU_DEP_1)
	v_lshrrev_b32_e32 v2, s10, v2
	v_mul_lo_u32 v3, v2, s11
	v_cmp_gt_u32_e64 s3, s4, v2
	v_cmp_gt_u32_e64 s4, s5, v1
	s_delay_alu instid0(VALU_DEP_3) | instskip(SKIP_1) | instid1(VALU_DEP_1)
	v_sub_nc_u32_e32 v0, v0, v3
	s_waitcnt lgkmcnt(0)
	v_mul_hi_u32 v3, v0, s12
	s_delay_alu instid0(VALU_DEP_1) | instskip(NEXT) | instid1(VALU_DEP_1)
	v_add_nc_u32_e32 v3, v0, v3
	v_lshrrev_b32_e32 v3, s13, v3
	s_delay_alu instid0(VALU_DEP_1) | instskip(SKIP_1) | instid1(VALU_DEP_2)
	v_mul_lo_u32 v4, v3, s14
	v_cmp_gt_u32_e64 s2, s2, v3
	v_sub_nc_u32_e32 v0, v0, v4
	s_delay_alu instid0(VALU_DEP_1) | instskip(NEXT) | instid1(VALU_DEP_3)
	v_cmp_gt_u32_e32 vcc_lo, s14, v0
	s_and_b32 s2, vcc_lo, s2
	s_delay_alu instid0(SALU_CYCLE_1) | instskip(NEXT) | instid1(SALU_CYCLE_1)
	s_and_b32 s2, s2, s3
	s_and_b32 s2, s4, s2
	s_delay_alu instid0(SALU_CYCLE_1)
	s_and_saveexec_b32 s3, s2
	s_cbranch_execz .LBB10_5
; %bb.1:
	s_clause 0x4
	s_load_b64 s[2:3], s[0:1], 0x0
	s_load_b128 s[20:23], s[0:1], 0xa8
	s_load_b256 s[4:11], s[0:1], 0x88
	s_load_b128 s[24:27], s[0:1], 0x78
	s_load_b256 s[12:19], s[0:1], 0x58
	s_waitcnt lgkmcnt(0)
	s_cmp_eq_u64 s[2:3], 0
	s_cbranch_scc1 .LBB10_3
; %bb.2:
	v_mul_lo_u32 v4, v1, s10
	v_mul_lo_u32 v6, v2, s9
	;; [unrolled: 1-line block ×3, first 2 shown]
	v_mov_b32_e32 v5, 0
	s_delay_alu instid0(VALU_DEP_2) | instskip(NEXT) | instid1(VALU_DEP_1)
	v_add3_u32 v4, v6, v4, v7
	v_lshlrev_b64 v[6:7], 1, v[4:5]
	v_mul_lo_u32 v4, v0, s7
	s_delay_alu instid0(VALU_DEP_2) | instskip(NEXT) | instid1(VALU_DEP_3)
	v_add_co_u32 v6, vcc_lo, s2, v6
	v_add_co_ci_u32_e32 v7, vcc_lo, s3, v7, vcc_lo
	s_delay_alu instid0(VALU_DEP_3) | instskip(NEXT) | instid1(VALU_DEP_1)
	v_lshlrev_b64 v[4:5], 1, v[4:5]
	v_add_co_u32 v4, vcc_lo, v6, v4
	s_delay_alu instid0(VALU_DEP_2)
	v_add_co_ci_u32_e32 v5, vcc_lo, v7, v5, vcc_lo
	global_load_u16 v4, v[4:5], off
	s_waitcnt vmcnt(0)
	v_cvt_f32_f16_e32 v4, v4
	s_branch .LBB10_4
.LBB10_3:
	v_mov_b32_e32 v4, 0
.LBB10_4:
	v_mul_hi_u32 v5, s25, v1
	v_mul_hi_u32 v6, s18, v2
	;; [unrolled: 1-line block ×4, first 2 shown]
	s_clause 0x1
	s_load_b64 s[2:3], s[0:1], 0xb8
	s_load_b64 s[0:1], s[0:1], 0x10
	s_delay_alu instid0(VALU_DEP_4) | instskip(NEXT) | instid1(VALU_DEP_4)
	v_add_nc_u32_e32 v5, v1, v5
	v_add_nc_u32_e32 v6, v2, v6
	s_delay_alu instid0(VALU_DEP_4) | instskip(NEXT) | instid1(VALU_DEP_4)
	v_add_nc_u32_e32 v7, v3, v7
	v_add_nc_u32_e32 v8, v0, v8
	s_delay_alu instid0(VALU_DEP_4) | instskip(NEXT) | instid1(VALU_DEP_4)
	v_lshrrev_b32_e32 v5, s26, v5
	v_lshrrev_b32_e32 v6, s19, v6
	s_delay_alu instid0(VALU_DEP_4) | instskip(NEXT) | instid1(VALU_DEP_4)
	v_lshrrev_b32_e32 v7, s16, v7
	v_lshrrev_b32_e32 v8, s13, v8
	s_delay_alu instid0(VALU_DEP_4) | instskip(NEXT) | instid1(VALU_DEP_4)
	v_mul_lo_u32 v5, v5, s27
	v_mul_lo_u32 v6, v6, s24
	s_delay_alu instid0(VALU_DEP_4) | instskip(NEXT) | instid1(VALU_DEP_4)
	v_mul_lo_u32 v7, v7, s17
	v_mul_lo_u32 v8, v8, s14
	s_delay_alu instid0(VALU_DEP_4) | instskip(NEXT) | instid1(VALU_DEP_4)
	v_sub_nc_u32_e32 v5, v1, v5
	v_sub_nc_u32_e32 v6, v2, v6
	s_delay_alu instid0(VALU_DEP_4) | instskip(NEXT) | instid1(VALU_DEP_4)
	v_sub_nc_u32_e32 v7, v3, v7
	v_sub_nc_u32_e32 v8, v0, v8
	v_mul_lo_u32 v1, v1, s6
	v_mul_lo_u32 v5, v5, s22
	;; [unrolled: 1-line block ×5, first 2 shown]
	s_delay_alu instid0(VALU_DEP_2) | instskip(SKIP_1) | instid1(VALU_DEP_2)
	v_add3_u32 v5, v6, v5, v7
	v_mul_lo_u32 v7, v8, s11
	v_ashrrev_i32_e32 v6, 31, v5
	s_delay_alu instid0(VALU_DEP_2) | instskip(NEXT) | instid1(VALU_DEP_2)
	v_ashrrev_i32_e32 v8, 31, v7
	v_lshlrev_b64 v[5:6], 1, v[5:6]
	s_delay_alu instid0(VALU_DEP_2) | instskip(SKIP_1) | instid1(VALU_DEP_2)
	v_lshlrev_b64 v[7:8], 1, v[7:8]
	s_waitcnt lgkmcnt(0)
	v_add_co_u32 v5, vcc_lo, s2, v5
	s_delay_alu instid0(VALU_DEP_3) | instskip(NEXT) | instid1(VALU_DEP_2)
	v_add_co_ci_u32_e32 v6, vcc_lo, s3, v6, vcc_lo
	v_add_co_u32 v5, vcc_lo, v5, v7
	s_delay_alu instid0(VALU_DEP_2) | instskip(SKIP_3) | instid1(VALU_DEP_2)
	v_add_co_ci_u32_e32 v6, vcc_lo, v6, v8, vcc_lo
	global_load_u16 v5, v[5:6], off
	v_mul_lo_u32 v6, v3, s4
	v_mov_b32_e32 v3, 0
	v_add3_u32 v2, v2, v1, v6
	s_delay_alu instid0(VALU_DEP_2) | instskip(NEXT) | instid1(VALU_DEP_2)
	v_mov_b32_e32 v1, v3
	v_lshlrev_b64 v[2:3], 1, v[2:3]
	s_delay_alu instid0(VALU_DEP_2) | instskip(NEXT) | instid1(VALU_DEP_2)
	v_lshlrev_b64 v[0:1], 1, v[0:1]
	v_add_co_u32 v2, vcc_lo, s0, v2
	s_delay_alu instid0(VALU_DEP_3) | instskip(NEXT) | instid1(VALU_DEP_2)
	v_add_co_ci_u32_e32 v3, vcc_lo, s1, v3, vcc_lo
	v_add_co_u32 v0, vcc_lo, v2, v0
	s_delay_alu instid0(VALU_DEP_2) | instskip(SKIP_2) | instid1(VALU_DEP_1)
	v_add_co_ci_u32_e32 v1, vcc_lo, v3, v1, vcc_lo
	s_waitcnt vmcnt(0)
	v_cvt_f32_f16_e32 v5, v5
	v_add_f32_e32 v4, v4, v5
	s_delay_alu instid0(VALU_DEP_1)
	v_cvt_f16_f32_e32 v4, v4
	global_store_b16 v[0:1], v4, off
.LBB10_5:
	s_nop 0
	s_sendmsg sendmsg(MSG_DEALLOC_VGPRS)
	s_endpgm
	.section	.rodata,"a",@progbits
	.p2align	6, 0x0
	.amdhsa_kernel _ZL19k_bin_bcast_unravelIXadL_ZL6op_addffEE6__halfS0_S0_JPKS0_EEvPKT0_PKT1_PT2_15HIP_vector_typeIjLj3EESC_SC_jSC_SC_SC_SC_SC_SC_iiiiiiiiiiiDpT3_
		.amdhsa_group_segment_fixed_size 0
		.amdhsa_private_segment_fixed_size 0
		.amdhsa_kernarg_size 448
		.amdhsa_user_sgpr_count 15
		.amdhsa_user_sgpr_dispatch_ptr 0
		.amdhsa_user_sgpr_queue_ptr 0
		.amdhsa_user_sgpr_kernarg_segment_ptr 1
		.amdhsa_user_sgpr_dispatch_id 0
		.amdhsa_user_sgpr_private_segment_size 0
		.amdhsa_wavefront_size32 1
		.amdhsa_uses_dynamic_stack 0
		.amdhsa_enable_private_segment 0
		.amdhsa_system_sgpr_workgroup_id_x 1
		.amdhsa_system_sgpr_workgroup_id_y 0
		.amdhsa_system_sgpr_workgroup_id_z 0
		.amdhsa_system_sgpr_workgroup_info 0
		.amdhsa_system_vgpr_workitem_id 0
		.amdhsa_next_free_vgpr 9
		.amdhsa_next_free_sgpr 28
		.amdhsa_reserve_vcc 1
		.amdhsa_float_round_mode_32 0
		.amdhsa_float_round_mode_16_64 0
		.amdhsa_float_denorm_mode_32 3
		.amdhsa_float_denorm_mode_16_64 3
		.amdhsa_dx10_clamp 1
		.amdhsa_ieee_mode 1
		.amdhsa_fp16_overflow 0
		.amdhsa_workgroup_processor_mode 1
		.amdhsa_memory_ordered 1
		.amdhsa_forward_progress 0
		.amdhsa_shared_vgpr_count 0
		.amdhsa_exception_fp_ieee_invalid_op 0
		.amdhsa_exception_fp_denorm_src 0
		.amdhsa_exception_fp_ieee_div_zero 0
		.amdhsa_exception_fp_ieee_overflow 0
		.amdhsa_exception_fp_ieee_underflow 0
		.amdhsa_exception_fp_ieee_inexact 0
		.amdhsa_exception_int_div_zero 0
	.end_amdhsa_kernel
	.section	.text._ZL19k_bin_bcast_unravelIXadL_ZL6op_addffEE6__halfS0_S0_JPKS0_EEvPKT0_PKT1_PT2_15HIP_vector_typeIjLj3EESC_SC_jSC_SC_SC_SC_SC_SC_iiiiiiiiiiiDpT3_,"axG",@progbits,_ZL19k_bin_bcast_unravelIXadL_ZL6op_addffEE6__halfS0_S0_JPKS0_EEvPKT0_PKT1_PT2_15HIP_vector_typeIjLj3EESC_SC_jSC_SC_SC_SC_SC_SC_iiiiiiiiiiiDpT3_,comdat
.Lfunc_end10:
	.size	_ZL19k_bin_bcast_unravelIXadL_ZL6op_addffEE6__halfS0_S0_JPKS0_EEvPKT0_PKT1_PT2_15HIP_vector_typeIjLj3EESC_SC_jSC_SC_SC_SC_SC_SC_iiiiiiiiiiiDpT3_, .Lfunc_end10-_ZL19k_bin_bcast_unravelIXadL_ZL6op_addffEE6__halfS0_S0_JPKS0_EEvPKT0_PKT1_PT2_15HIP_vector_typeIjLj3EESC_SC_jSC_SC_SC_SC_SC_SC_iiiiiiiiiiiDpT3_
                                        ; -- End function
	.section	.AMDGPU.csdata,"",@progbits
; Kernel info:
; codeLenInByte = 840
; NumSgprs: 30
; NumVgprs: 9
; ScratchSize: 0
; MemoryBound: 0
; FloatMode: 240
; IeeeMode: 1
; LDSByteSize: 0 bytes/workgroup (compile time only)
; SGPRBlocks: 3
; VGPRBlocks: 1
; NumSGPRsForWavesPerEU: 30
; NumVGPRsForWavesPerEU: 9
; Occupancy: 16
; WaveLimiterHint : 1
; COMPUTE_PGM_RSRC2:SCRATCH_EN: 0
; COMPUTE_PGM_RSRC2:USER_SGPR: 15
; COMPUTE_PGM_RSRC2:TRAP_HANDLER: 0
; COMPUTE_PGM_RSRC2:TGID_X_EN: 1
; COMPUTE_PGM_RSRC2:TGID_Y_EN: 0
; COMPUTE_PGM_RSRC2:TGID_Z_EN: 0
; COMPUTE_PGM_RSRC2:TIDIG_COMP_CNT: 0
	.section	.text._ZL11k_bin_bcastIXadL_ZL6op_addffEE6__halfS0_S0_JPKS0_EEvPKT0_PKT1_PT2_iii15HIP_vector_typeIjLj3EESC_SC_SC_SC_iiiiiiiiiiiDpT3_,"axG",@progbits,_ZL11k_bin_bcastIXadL_ZL6op_addffEE6__halfS0_S0_JPKS0_EEvPKT0_PKT1_PT2_iii15HIP_vector_typeIjLj3EESC_SC_SC_SC_iiiiiiiiiiiDpT3_,comdat
	.globl	_ZL11k_bin_bcastIXadL_ZL6op_addffEE6__halfS0_S0_JPKS0_EEvPKT0_PKT1_PT2_iii15HIP_vector_typeIjLj3EESC_SC_SC_SC_iiiiiiiiiiiDpT3_ ; -- Begin function _ZL11k_bin_bcastIXadL_ZL6op_addffEE6__halfS0_S0_JPKS0_EEvPKT0_PKT1_PT2_iii15HIP_vector_typeIjLj3EESC_SC_SC_SC_iiiiiiiiiiiDpT3_
	.p2align	8
	.type	_ZL11k_bin_bcastIXadL_ZL6op_addffEE6__halfS0_S0_JPKS0_EEvPKT0_PKT1_PT2_iii15HIP_vector_typeIjLj3EESC_SC_SC_SC_iiiiiiiiiiiDpT3_,@function
_ZL11k_bin_bcastIXadL_ZL6op_addffEE6__halfS0_S0_JPKS0_EEvPKT0_PKT1_PT2_iii15HIP_vector_typeIjLj3EESC_SC_SC_SC_iiiiiiiiiiiDpT3_: ; @_ZL11k_bin_bcastIXadL_ZL6op_addffEE6__halfS0_S0_JPKS0_EEvPKT0_PKT1_PT2_iii15HIP_vector_typeIjLj3EESC_SC_SC_SC_iiiiiiiiiiiDpT3_
; %bb.0:
	s_clause 0x1
	s_load_b64 s[2:3], s[0:1], 0xa4
	s_load_b256 s[16:23], s[0:1], 0x18
	v_bfe_u32 v1, v0, 20, 10
	s_add_u32 s24, s0, 0x98
	s_addc_u32 s25, s1, 0
	v_bfe_u32 v6, v0, 10, 10
	s_waitcnt lgkmcnt(0)
	s_and_b32 s3, s3, 0xffff
	s_and_b32 s12, s2, 0xffff
	v_mad_u64_u32 v[2:3], null, s15, s3, v[1:2]
	v_and_b32_e32 v3, 0x3ff, v0
	s_lshr_b32 s3, s2, 16
	s_delay_alu instid0(VALU_DEP_2) | instskip(NEXT) | instid1(VALU_DEP_1)
	v_mul_hi_u32 v1, v2, s19
	v_add_nc_u32_e32 v1, v2, v1
	s_delay_alu instid0(VALU_DEP_1) | instskip(SKIP_2) | instid1(VALU_DEP_3)
	v_lshrrev_b32_e32 v5, s20, v1
	v_mad_u64_u32 v[0:1], null, s13, s12, v[3:4]
	v_mad_u64_u32 v[3:4], null, s14, s3, v[6:7]
	v_mul_lo_u32 v1, v5, s21
	v_cmp_gt_u32_e64 s3, s18, v5
	s_delay_alu instid0(VALU_DEP_4) | instskip(NEXT) | instid1(VALU_DEP_4)
	v_cmp_gt_u32_e32 vcc_lo, s16, v0
	v_cmp_gt_u32_e64 s2, s17, v3
	s_delay_alu instid0(VALU_DEP_4) | instskip(NEXT) | instid1(VALU_DEP_2)
	v_sub_nc_u32_e32 v4, v2, v1
	s_and_b32 s2, vcc_lo, s2
	s_delay_alu instid0(SALU_CYCLE_1) | instskip(NEXT) | instid1(VALU_DEP_1)
	s_and_b32 s2, s2, s3
	v_cmp_gt_u32_e64 s4, s21, v4
	s_delay_alu instid0(VALU_DEP_1) | instskip(NEXT) | instid1(SALU_CYCLE_1)
	s_and_b32 s2, s2, s4
	s_and_saveexec_b32 s3, s2
	s_cbranch_execz .LBB11_6
; %bb.1:
	v_cmp_gt_i32_e32 vcc_lo, s16, v0
	s_and_b32 exec_lo, exec_lo, vcc_lo
	s_cbranch_execz .LBB11_6
; %bb.2:
	s_clause 0x2
	s_load_b256 s[36:43], s[0:1], 0x3c
	s_load_b256 s[4:11], s[0:1], 0x60
	s_load_b32 s13, s[0:1], 0x5c
	s_load_b32 s17, s[24:25], 0x0
	s_clause 0x4
	s_load_b128 s[24:27], s[0:1], 0x80
	s_load_b64 s[2:3], s[0:1], 0x0
	s_load_b32 s18, s[0:1], 0x38
	s_load_b64 s[14:15], s[0:1], 0x10
	s_load_b64 s[0:1], s[0:1], 0x90
	s_waitcnt lgkmcnt(0)
	v_mul_hi_u32 v1, s39, v5
	v_mov_b32_e32 v2, 0
	v_mul_hi_u32 v6, s42, v4
	v_mul_hi_u32 v7, s36, v3
	v_mul_lo_u32 v8, v4, s10
	v_mul_lo_u32 v9, v5, s9
	;; [unrolled: 1-line block ×4, first 2 shown]
	v_add_nc_u32_e32 v1, v5, v1
	v_mul_lo_u32 v12, v4, s6
	v_add_nc_u32_e32 v6, v4, v6
	v_add_nc_u32_e32 v7, v3, v7
	v_mul_lo_u32 v14, v3, s4
	v_lshrrev_b32_e32 v1, s40, v1
	s_cmp_lg_u64 s[2:3], 0
	s_delay_alu instid0(VALU_DEP_3) | instskip(NEXT) | instid1(VALU_DEP_2)
	v_lshrrev_b32_e32 v7, s37, v7
	v_mul_lo_u32 v11, v1, s41
	v_add3_u32 v1, v9, v10, v8
	s_delay_alu instid0(VALU_DEP_3) | instskip(NEXT) | instid1(VALU_DEP_3)
	v_mul_lo_u32 v7, v7, s38
	v_sub_nc_u32_e32 v8, v5, v11
	v_mov_b32_e32 v5, v2
	v_lshrrev_b32_e32 v6, s43, v6
	s_delay_alu instid0(VALU_DEP_4) | instskip(NEXT) | instid1(VALU_DEP_2)
	v_sub_nc_u32_e32 v3, v3, v7
	v_mul_lo_u32 v6, v6, s13
	s_delay_alu instid0(VALU_DEP_2) | instskip(SKIP_1) | instid1(VALU_DEP_3)
	v_mul_lo_u32 v9, v3, s24
	v_mul_lo_u32 v3, s7, v0
	v_sub_nc_u32_e32 v4, v4, v6
	v_lshlrev_b64 v[6:7], 1, v[1:2]
	v_mul_lo_u32 v1, v8, s25
	s_delay_alu instid0(VALU_DEP_3) | instskip(SKIP_1) | instid1(VALU_DEP_4)
	v_mul_lo_u32 v8, v4, s26
	v_add3_u32 v4, v13, v14, v12
	v_add_co_u32 v10, vcc_lo, s2, v6
	v_add_co_ci_u32_e32 v6, vcc_lo, s3, v7, vcc_lo
	s_cselect_b32 vcc_lo, -1, 0
	s_mul_i32 s2, s17, s12
	s_delay_alu instid0(VALU_DEP_4) | instskip(NEXT) | instid1(VALU_DEP_2)
	v_add3_u32 v1, v1, v8, v9
	v_cndmask_b32_e32 v6, 0, v6, vcc_lo
	v_lshlrev_b64 v[7:8], 1, v[4:5]
	v_cndmask_b32_e32 v5, 0, v10, vcc_lo
	s_mov_b32 s3, 0
	v_lshlrev_b64 v[9:10], 1, v[1:2]
	s_mul_i32 s4, s2, s7
	s_sub_i32 s5, 0, s18
	v_add_co_u32 v7, vcc_lo, s14, v7
	v_add_co_ci_u32_e32 v8, vcc_lo, s15, v8, vcc_lo
	s_delay_alu instid0(VALU_DEP_3)
	v_add_co_u32 v9, s0, s0, v9
	v_cmp_ne_u64_e32 vcc_lo, 0, v[5:6]
	v_add_co_ci_u32_e64 v10, s0, s1, v10, s0
	s_branch .LBB11_4
.LBB11_3:                               ;   in Loop: Header=BB11_4 Depth=1
	s_or_b32 exec_lo, exec_lo, s1
	v_mul_hi_u32 v1, s22, v0
	v_add_nc_u32_e32 v3, s4, v3
	s_delay_alu instid0(VALU_DEP_2) | instskip(NEXT) | instid1(VALU_DEP_1)
	v_add_nc_u32_e32 v1, v0, v1
	v_lshrrev_b32_e32 v1, s23, v1
	s_delay_alu instid0(VALU_DEP_1) | instskip(NEXT) | instid1(VALU_DEP_1)
	v_mad_u64_u32 v[11:12], null, s5, v1, v[0:1]
	v_mul_lo_u32 v1, v11, s11
	s_delay_alu instid0(VALU_DEP_1) | instskip(SKIP_1) | instid1(VALU_DEP_2)
	v_lshlrev_b64 v[11:12], 1, v[1:2]
	v_ashrrev_i32_e32 v1, 31, v0
	v_add_co_u32 v11, s0, v9, v11
	s_delay_alu instid0(VALU_DEP_1) | instskip(SKIP_4) | instid1(VALU_DEP_2)
	v_add_co_ci_u32_e64 v12, s0, v10, v12, s0
	global_load_u16 v11, v[11:12], off
	s_waitcnt vmcnt(0)
	v_cvt_f32_f16_e32 v13, v11
	v_lshlrev_b64 v[11:12], 1, v[0:1]
	v_dual_add_f32 v1, v4, v13 :: v_dual_add_nc_u32 v0, s2, v0
	s_delay_alu instid0(VALU_DEP_1) | instskip(NEXT) | instid1(VALU_DEP_3)
	v_cmp_le_i32_e64 s0, s16, v0
	v_add_co_u32 v11, s1, v7, v11
	s_delay_alu instid0(VALU_DEP_3) | instskip(SKIP_1) | instid1(VALU_DEP_4)
	v_cvt_f16_f32_e32 v1, v1
	v_add_co_ci_u32_e64 v12, s1, v8, v12, s1
	s_or_b32 s3, s0, s3
	global_store_b16 v[11:12], v1, off
	s_and_not1_b32 exec_lo, exec_lo, s3
	s_cbranch_execz .LBB11_6
.LBB11_4:                               ; =>This Inner Loop Header: Depth=1
	v_mov_b32_e32 v4, 0
	s_and_saveexec_b32 s1, vcc_lo
	s_cbranch_execz .LBB11_3
; %bb.5:                                ;   in Loop: Header=BB11_4 Depth=1
	v_ashrrev_i32_e32 v4, 31, v3
	s_delay_alu instid0(VALU_DEP_1) | instskip(NEXT) | instid1(VALU_DEP_1)
	v_lshlrev_b64 v[11:12], 1, v[3:4]
	v_add_co_u32 v11, s0, v5, v11
	s_delay_alu instid0(VALU_DEP_1)
	v_add_co_ci_u32_e64 v12, s0, v6, v12, s0
	global_load_u16 v1, v[11:12], off
	s_waitcnt vmcnt(0)
	v_cvt_f32_f16_e32 v4, v1
	s_branch .LBB11_3
.LBB11_6:
	s_nop 0
	s_sendmsg sendmsg(MSG_DEALLOC_VGPRS)
	s_endpgm
	.section	.rodata,"a",@progbits
	.p2align	6, 0x0
	.amdhsa_kernel _ZL11k_bin_bcastIXadL_ZL6op_addffEE6__halfS0_S0_JPKS0_EEvPKT0_PKT1_PT2_iii15HIP_vector_typeIjLj3EESC_SC_SC_SC_iiiiiiiiiiiDpT3_
		.amdhsa_group_segment_fixed_size 0
		.amdhsa_private_segment_fixed_size 0
		.amdhsa_kernarg_size 408
		.amdhsa_user_sgpr_count 13
		.amdhsa_user_sgpr_dispatch_ptr 0
		.amdhsa_user_sgpr_queue_ptr 0
		.amdhsa_user_sgpr_kernarg_segment_ptr 1
		.amdhsa_user_sgpr_dispatch_id 0
		.amdhsa_user_sgpr_private_segment_size 0
		.amdhsa_wavefront_size32 1
		.amdhsa_uses_dynamic_stack 0
		.amdhsa_enable_private_segment 0
		.amdhsa_system_sgpr_workgroup_id_x 1
		.amdhsa_system_sgpr_workgroup_id_y 1
		.amdhsa_system_sgpr_workgroup_id_z 1
		.amdhsa_system_sgpr_workgroup_info 0
		.amdhsa_system_vgpr_workitem_id 2
		.amdhsa_next_free_vgpr 15
		.amdhsa_next_free_sgpr 44
		.amdhsa_reserve_vcc 1
		.amdhsa_float_round_mode_32 0
		.amdhsa_float_round_mode_16_64 0
		.amdhsa_float_denorm_mode_32 3
		.amdhsa_float_denorm_mode_16_64 3
		.amdhsa_dx10_clamp 1
		.amdhsa_ieee_mode 1
		.amdhsa_fp16_overflow 0
		.amdhsa_workgroup_processor_mode 1
		.amdhsa_memory_ordered 1
		.amdhsa_forward_progress 0
		.amdhsa_shared_vgpr_count 0
		.amdhsa_exception_fp_ieee_invalid_op 0
		.amdhsa_exception_fp_denorm_src 0
		.amdhsa_exception_fp_ieee_div_zero 0
		.amdhsa_exception_fp_ieee_overflow 0
		.amdhsa_exception_fp_ieee_underflow 0
		.amdhsa_exception_fp_ieee_inexact 0
		.amdhsa_exception_int_div_zero 0
	.end_amdhsa_kernel
	.section	.text._ZL11k_bin_bcastIXadL_ZL6op_addffEE6__halfS0_S0_JPKS0_EEvPKT0_PKT1_PT2_iii15HIP_vector_typeIjLj3EESC_SC_SC_SC_iiiiiiiiiiiDpT3_,"axG",@progbits,_ZL11k_bin_bcastIXadL_ZL6op_addffEE6__halfS0_S0_JPKS0_EEvPKT0_PKT1_PT2_iii15HIP_vector_typeIjLj3EESC_SC_SC_SC_iiiiiiiiiiiDpT3_,comdat
.Lfunc_end11:
	.size	_ZL11k_bin_bcastIXadL_ZL6op_addffEE6__halfS0_S0_JPKS0_EEvPKT0_PKT1_PT2_iii15HIP_vector_typeIjLj3EESC_SC_SC_SC_iiiiiiiiiiiDpT3_, .Lfunc_end11-_ZL11k_bin_bcastIXadL_ZL6op_addffEE6__halfS0_S0_JPKS0_EEvPKT0_PKT1_PT2_iii15HIP_vector_typeIjLj3EESC_SC_SC_SC_iiiiiiiiiiiDpT3_
                                        ; -- End function
	.section	.AMDGPU.csdata,"",@progbits
; Kernel info:
; codeLenInByte = 880
; NumSgprs: 46
; NumVgprs: 15
; ScratchSize: 0
; MemoryBound: 0
; FloatMode: 240
; IeeeMode: 1
; LDSByteSize: 0 bytes/workgroup (compile time only)
; SGPRBlocks: 5
; VGPRBlocks: 1
; NumSGPRsForWavesPerEU: 46
; NumVGPRsForWavesPerEU: 15
; Occupancy: 16
; WaveLimiterHint : 1
; COMPUTE_PGM_RSRC2:SCRATCH_EN: 0
; COMPUTE_PGM_RSRC2:USER_SGPR: 13
; COMPUTE_PGM_RSRC2:TRAP_HANDLER: 0
; COMPUTE_PGM_RSRC2:TGID_X_EN: 1
; COMPUTE_PGM_RSRC2:TGID_Y_EN: 1
; COMPUTE_PGM_RSRC2:TGID_Z_EN: 1
; COMPUTE_PGM_RSRC2:TIDIG_COMP_CNT: 2
	.section	.text._ZL19k_bin_bcast_unravelIXadL_ZL6op_addffEE6__halffS0_JPKfEEvPKT0_PKT1_PT2_15HIP_vector_typeIjLj3EESC_SC_jSC_SC_SC_SC_SC_SC_iiiiiiiiiiiDpT3_,"axG",@progbits,_ZL19k_bin_bcast_unravelIXadL_ZL6op_addffEE6__halffS0_JPKfEEvPKT0_PKT1_PT2_15HIP_vector_typeIjLj3EESC_SC_jSC_SC_SC_SC_SC_SC_iiiiiiiiiiiDpT3_,comdat
	.globl	_ZL19k_bin_bcast_unravelIXadL_ZL6op_addffEE6__halffS0_JPKfEEvPKT0_PKT1_PT2_15HIP_vector_typeIjLj3EESC_SC_jSC_SC_SC_SC_SC_SC_iiiiiiiiiiiDpT3_ ; -- Begin function _ZL19k_bin_bcast_unravelIXadL_ZL6op_addffEE6__halffS0_JPKfEEvPKT0_PKT1_PT2_15HIP_vector_typeIjLj3EESC_SC_jSC_SC_SC_SC_SC_SC_iiiiiiiiiiiDpT3_
	.p2align	8
	.type	_ZL19k_bin_bcast_unravelIXadL_ZL6op_addffEE6__halffS0_JPKfEEvPKT0_PKT1_PT2_15HIP_vector_typeIjLj3EESC_SC_jSC_SC_SC_SC_SC_SC_iiiiiiiiiiiDpT3_,@function
_ZL19k_bin_bcast_unravelIXadL_ZL6op_addffEE6__halffS0_JPKfEEvPKT0_PKT1_PT2_15HIP_vector_typeIjLj3EESC_SC_jSC_SC_SC_SC_SC_SC_iiiiiiiiiiiDpT3_: ; @_ZL19k_bin_bcast_unravelIXadL_ZL6op_addffEE6__halffS0_JPKfEEvPKT0_PKT1_PT2_15HIP_vector_typeIjLj3EESC_SC_jSC_SC_SC_SC_SC_SC_iiiiiiiiiiiDpT3_
; %bb.0:
	s_clause 0x1
	s_load_b32 s2, s[0:1], 0xcc
	s_load_b256 s[4:11], s[0:1], 0x38
	s_waitcnt lgkmcnt(0)
	s_and_b32 s2, s2, 0xffff
	s_delay_alu instid0(SALU_CYCLE_1) | instskip(SKIP_3) | instid1(VALU_DEP_1)
	v_mad_u64_u32 v[2:3], null, s15, s2, v[0:1]
	s_clause 0x1
	s_load_b128 s[12:15], s[0:1], 0x18
	s_load_b32 s2, s[0:1], 0x2c
	v_mul_hi_u32 v0, v2, s6
	s_delay_alu instid0(VALU_DEP_1) | instskip(NEXT) | instid1(VALU_DEP_1)
	v_add_nc_u32_e32 v0, v2, v0
	v_lshrrev_b32_e32 v1, s7, v0
	s_delay_alu instid0(VALU_DEP_1) | instskip(NEXT) | instid1(VALU_DEP_1)
	v_mul_lo_u32 v0, v1, s8
	v_sub_nc_u32_e32 v0, v2, v0
	s_delay_alu instid0(VALU_DEP_1) | instskip(NEXT) | instid1(VALU_DEP_1)
	v_mul_hi_u32 v2, v0, s9
	v_add_nc_u32_e32 v2, v0, v2
	s_delay_alu instid0(VALU_DEP_1) | instskip(NEXT) | instid1(VALU_DEP_1)
	v_lshrrev_b32_e32 v2, s10, v2
	v_mul_lo_u32 v3, v2, s11
	v_cmp_gt_u32_e64 s3, s4, v2
	v_cmp_gt_u32_e64 s4, s5, v1
	s_delay_alu instid0(VALU_DEP_3) | instskip(SKIP_1) | instid1(VALU_DEP_1)
	v_sub_nc_u32_e32 v0, v0, v3
	s_waitcnt lgkmcnt(0)
	v_mul_hi_u32 v3, v0, s12
	s_delay_alu instid0(VALU_DEP_1) | instskip(NEXT) | instid1(VALU_DEP_1)
	v_add_nc_u32_e32 v3, v0, v3
	v_lshrrev_b32_e32 v3, s13, v3
	s_delay_alu instid0(VALU_DEP_1) | instskip(SKIP_1) | instid1(VALU_DEP_2)
	v_mul_lo_u32 v4, v3, s14
	v_cmp_gt_u32_e64 s2, s2, v3
	v_sub_nc_u32_e32 v0, v0, v4
	s_delay_alu instid0(VALU_DEP_1) | instskip(NEXT) | instid1(VALU_DEP_3)
	v_cmp_gt_u32_e32 vcc_lo, s14, v0
	s_and_b32 s2, vcc_lo, s2
	s_delay_alu instid0(SALU_CYCLE_1) | instskip(NEXT) | instid1(SALU_CYCLE_1)
	s_and_b32 s2, s2, s3
	s_and_b32 s2, s4, s2
	s_delay_alu instid0(SALU_CYCLE_1)
	s_and_saveexec_b32 s3, s2
	s_cbranch_execz .LBB12_5
; %bb.1:
	s_clause 0x4
	s_load_b64 s[2:3], s[0:1], 0x0
	s_load_b128 s[20:23], s[0:1], 0xa8
	s_load_b256 s[4:11], s[0:1], 0x88
	s_load_b128 s[24:27], s[0:1], 0x78
	s_load_b256 s[12:19], s[0:1], 0x58
	s_waitcnt lgkmcnt(0)
	s_cmp_eq_u64 s[2:3], 0
	s_cbranch_scc1 .LBB12_3
; %bb.2:
	v_mul_lo_u32 v4, v1, s10
	v_mul_lo_u32 v6, v2, s9
	;; [unrolled: 1-line block ×3, first 2 shown]
	v_mov_b32_e32 v5, 0
	s_delay_alu instid0(VALU_DEP_2) | instskip(NEXT) | instid1(VALU_DEP_1)
	v_add3_u32 v4, v6, v4, v7
	v_lshlrev_b64 v[6:7], 1, v[4:5]
	v_mul_lo_u32 v4, v0, s7
	s_delay_alu instid0(VALU_DEP_2) | instskip(NEXT) | instid1(VALU_DEP_3)
	v_add_co_u32 v6, vcc_lo, s2, v6
	v_add_co_ci_u32_e32 v7, vcc_lo, s3, v7, vcc_lo
	s_delay_alu instid0(VALU_DEP_3) | instskip(NEXT) | instid1(VALU_DEP_1)
	v_lshlrev_b64 v[4:5], 1, v[4:5]
	v_add_co_u32 v4, vcc_lo, v6, v4
	s_delay_alu instid0(VALU_DEP_2)
	v_add_co_ci_u32_e32 v5, vcc_lo, v7, v5, vcc_lo
	global_load_u16 v4, v[4:5], off
	s_waitcnt vmcnt(0)
	v_cvt_f32_f16_e32 v4, v4
	s_branch .LBB12_4
.LBB12_3:
	v_mov_b32_e32 v4, 0
.LBB12_4:
	v_mul_hi_u32 v5, s25, v1
	v_mul_hi_u32 v6, s18, v2
	;; [unrolled: 1-line block ×4, first 2 shown]
	s_clause 0x1
	s_load_b64 s[2:3], s[0:1], 0xb8
	s_load_b64 s[0:1], s[0:1], 0x10
	s_delay_alu instid0(VALU_DEP_4) | instskip(NEXT) | instid1(VALU_DEP_4)
	v_add_nc_u32_e32 v5, v1, v5
	v_add_nc_u32_e32 v6, v2, v6
	s_delay_alu instid0(VALU_DEP_4) | instskip(NEXT) | instid1(VALU_DEP_4)
	v_add_nc_u32_e32 v7, v3, v7
	v_add_nc_u32_e32 v8, v0, v8
	s_delay_alu instid0(VALU_DEP_4) | instskip(NEXT) | instid1(VALU_DEP_4)
	v_lshrrev_b32_e32 v5, s26, v5
	v_lshrrev_b32_e32 v6, s19, v6
	s_delay_alu instid0(VALU_DEP_4) | instskip(NEXT) | instid1(VALU_DEP_4)
	v_lshrrev_b32_e32 v7, s16, v7
	v_lshrrev_b32_e32 v8, s13, v8
	s_delay_alu instid0(VALU_DEP_4) | instskip(NEXT) | instid1(VALU_DEP_4)
	v_mul_lo_u32 v5, v5, s27
	v_mul_lo_u32 v6, v6, s24
	s_delay_alu instid0(VALU_DEP_4) | instskip(NEXT) | instid1(VALU_DEP_4)
	v_mul_lo_u32 v7, v7, s17
	v_mul_lo_u32 v8, v8, s14
	s_delay_alu instid0(VALU_DEP_4) | instskip(NEXT) | instid1(VALU_DEP_4)
	v_sub_nc_u32_e32 v5, v1, v5
	v_sub_nc_u32_e32 v6, v2, v6
	s_delay_alu instid0(VALU_DEP_4) | instskip(NEXT) | instid1(VALU_DEP_4)
	v_sub_nc_u32_e32 v7, v3, v7
	v_sub_nc_u32_e32 v8, v0, v8
	v_mul_lo_u32 v1, v1, s6
	v_mul_lo_u32 v5, v5, s22
	;; [unrolled: 1-line block ×5, first 2 shown]
	s_delay_alu instid0(VALU_DEP_2) | instskip(SKIP_1) | instid1(VALU_DEP_2)
	v_add3_u32 v5, v6, v5, v7
	v_mul_lo_u32 v7, v8, s11
	v_ashrrev_i32_e32 v6, 31, v5
	s_delay_alu instid0(VALU_DEP_2) | instskip(NEXT) | instid1(VALU_DEP_2)
	v_ashrrev_i32_e32 v8, 31, v7
	v_lshlrev_b64 v[5:6], 2, v[5:6]
	s_delay_alu instid0(VALU_DEP_2) | instskip(SKIP_1) | instid1(VALU_DEP_2)
	v_lshlrev_b64 v[7:8], 2, v[7:8]
	s_waitcnt lgkmcnt(0)
	v_add_co_u32 v5, vcc_lo, s2, v5
	s_delay_alu instid0(VALU_DEP_3) | instskip(NEXT) | instid1(VALU_DEP_2)
	v_add_co_ci_u32_e32 v6, vcc_lo, s3, v6, vcc_lo
	v_add_co_u32 v5, vcc_lo, v5, v7
	s_delay_alu instid0(VALU_DEP_2) | instskip(SKIP_3) | instid1(VALU_DEP_2)
	v_add_co_ci_u32_e32 v6, vcc_lo, v6, v8, vcc_lo
	global_load_b32 v5, v[5:6], off
	v_mul_lo_u32 v6, v3, s4
	v_mov_b32_e32 v3, 0
	v_add3_u32 v2, v2, v1, v6
	s_delay_alu instid0(VALU_DEP_2) | instskip(NEXT) | instid1(VALU_DEP_2)
	v_mov_b32_e32 v1, v3
	v_lshlrev_b64 v[2:3], 1, v[2:3]
	s_delay_alu instid0(VALU_DEP_2) | instskip(NEXT) | instid1(VALU_DEP_2)
	v_lshlrev_b64 v[0:1], 1, v[0:1]
	v_add_co_u32 v2, vcc_lo, s0, v2
	s_delay_alu instid0(VALU_DEP_3) | instskip(NEXT) | instid1(VALU_DEP_2)
	v_add_co_ci_u32_e32 v3, vcc_lo, s1, v3, vcc_lo
	v_add_co_u32 v0, vcc_lo, v2, v0
	s_delay_alu instid0(VALU_DEP_2) | instskip(SKIP_2) | instid1(VALU_DEP_1)
	v_add_co_ci_u32_e32 v1, vcc_lo, v3, v1, vcc_lo
	s_waitcnt vmcnt(0)
	v_add_f32_e32 v4, v4, v5
	v_cvt_f16_f32_e32 v4, v4
	global_store_b16 v[0:1], v4, off
.LBB12_5:
	s_nop 0
	s_sendmsg sendmsg(MSG_DEALLOC_VGPRS)
	s_endpgm
	.section	.rodata,"a",@progbits
	.p2align	6, 0x0
	.amdhsa_kernel _ZL19k_bin_bcast_unravelIXadL_ZL6op_addffEE6__halffS0_JPKfEEvPKT0_PKT1_PT2_15HIP_vector_typeIjLj3EESC_SC_jSC_SC_SC_SC_SC_SC_iiiiiiiiiiiDpT3_
		.amdhsa_group_segment_fixed_size 0
		.amdhsa_private_segment_fixed_size 0
		.amdhsa_kernarg_size 448
		.amdhsa_user_sgpr_count 15
		.amdhsa_user_sgpr_dispatch_ptr 0
		.amdhsa_user_sgpr_queue_ptr 0
		.amdhsa_user_sgpr_kernarg_segment_ptr 1
		.amdhsa_user_sgpr_dispatch_id 0
		.amdhsa_user_sgpr_private_segment_size 0
		.amdhsa_wavefront_size32 1
		.amdhsa_uses_dynamic_stack 0
		.amdhsa_enable_private_segment 0
		.amdhsa_system_sgpr_workgroup_id_x 1
		.amdhsa_system_sgpr_workgroup_id_y 0
		.amdhsa_system_sgpr_workgroup_id_z 0
		.amdhsa_system_sgpr_workgroup_info 0
		.amdhsa_system_vgpr_workitem_id 0
		.amdhsa_next_free_vgpr 9
		.amdhsa_next_free_sgpr 28
		.amdhsa_reserve_vcc 1
		.amdhsa_float_round_mode_32 0
		.amdhsa_float_round_mode_16_64 0
		.amdhsa_float_denorm_mode_32 3
		.amdhsa_float_denorm_mode_16_64 3
		.amdhsa_dx10_clamp 1
		.amdhsa_ieee_mode 1
		.amdhsa_fp16_overflow 0
		.amdhsa_workgroup_processor_mode 1
		.amdhsa_memory_ordered 1
		.amdhsa_forward_progress 0
		.amdhsa_shared_vgpr_count 0
		.amdhsa_exception_fp_ieee_invalid_op 0
		.amdhsa_exception_fp_denorm_src 0
		.amdhsa_exception_fp_ieee_div_zero 0
		.amdhsa_exception_fp_ieee_overflow 0
		.amdhsa_exception_fp_ieee_underflow 0
		.amdhsa_exception_fp_ieee_inexact 0
		.amdhsa_exception_int_div_zero 0
	.end_amdhsa_kernel
	.section	.text._ZL19k_bin_bcast_unravelIXadL_ZL6op_addffEE6__halffS0_JPKfEEvPKT0_PKT1_PT2_15HIP_vector_typeIjLj3EESC_SC_jSC_SC_SC_SC_SC_SC_iiiiiiiiiiiDpT3_,"axG",@progbits,_ZL19k_bin_bcast_unravelIXadL_ZL6op_addffEE6__halffS0_JPKfEEvPKT0_PKT1_PT2_15HIP_vector_typeIjLj3EESC_SC_jSC_SC_SC_SC_SC_SC_iiiiiiiiiiiDpT3_,comdat
.Lfunc_end12:
	.size	_ZL19k_bin_bcast_unravelIXadL_ZL6op_addffEE6__halffS0_JPKfEEvPKT0_PKT1_PT2_15HIP_vector_typeIjLj3EESC_SC_jSC_SC_SC_SC_SC_SC_iiiiiiiiiiiDpT3_, .Lfunc_end12-_ZL19k_bin_bcast_unravelIXadL_ZL6op_addffEE6__halffS0_JPKfEEvPKT0_PKT1_PT2_15HIP_vector_typeIjLj3EESC_SC_jSC_SC_SC_SC_SC_SC_iiiiiiiiiiiDpT3_
                                        ; -- End function
	.section	.AMDGPU.csdata,"",@progbits
; Kernel info:
; codeLenInByte = 832
; NumSgprs: 30
; NumVgprs: 9
; ScratchSize: 0
; MemoryBound: 0
; FloatMode: 240
; IeeeMode: 1
; LDSByteSize: 0 bytes/workgroup (compile time only)
; SGPRBlocks: 3
; VGPRBlocks: 1
; NumSGPRsForWavesPerEU: 30
; NumVGPRsForWavesPerEU: 9
; Occupancy: 16
; WaveLimiterHint : 1
; COMPUTE_PGM_RSRC2:SCRATCH_EN: 0
; COMPUTE_PGM_RSRC2:USER_SGPR: 15
; COMPUTE_PGM_RSRC2:TRAP_HANDLER: 0
; COMPUTE_PGM_RSRC2:TGID_X_EN: 1
; COMPUTE_PGM_RSRC2:TGID_Y_EN: 0
; COMPUTE_PGM_RSRC2:TGID_Z_EN: 0
; COMPUTE_PGM_RSRC2:TIDIG_COMP_CNT: 0
	.section	.text._ZL11k_bin_bcastIXadL_ZL6op_addffEE6__halffS0_JPKfEEvPKT0_PKT1_PT2_iii15HIP_vector_typeIjLj3EESC_SC_SC_SC_iiiiiiiiiiiDpT3_,"axG",@progbits,_ZL11k_bin_bcastIXadL_ZL6op_addffEE6__halffS0_JPKfEEvPKT0_PKT1_PT2_iii15HIP_vector_typeIjLj3EESC_SC_SC_SC_iiiiiiiiiiiDpT3_,comdat
	.globl	_ZL11k_bin_bcastIXadL_ZL6op_addffEE6__halffS0_JPKfEEvPKT0_PKT1_PT2_iii15HIP_vector_typeIjLj3EESC_SC_SC_SC_iiiiiiiiiiiDpT3_ ; -- Begin function _ZL11k_bin_bcastIXadL_ZL6op_addffEE6__halffS0_JPKfEEvPKT0_PKT1_PT2_iii15HIP_vector_typeIjLj3EESC_SC_SC_SC_iiiiiiiiiiiDpT3_
	.p2align	8
	.type	_ZL11k_bin_bcastIXadL_ZL6op_addffEE6__halffS0_JPKfEEvPKT0_PKT1_PT2_iii15HIP_vector_typeIjLj3EESC_SC_SC_SC_iiiiiiiiiiiDpT3_,@function
_ZL11k_bin_bcastIXadL_ZL6op_addffEE6__halffS0_JPKfEEvPKT0_PKT1_PT2_iii15HIP_vector_typeIjLj3EESC_SC_SC_SC_iiiiiiiiiiiDpT3_: ; @_ZL11k_bin_bcastIXadL_ZL6op_addffEE6__halffS0_JPKfEEvPKT0_PKT1_PT2_iii15HIP_vector_typeIjLj3EESC_SC_SC_SC_iiiiiiiiiiiDpT3_
; %bb.0:
	s_clause 0x1
	s_load_b64 s[2:3], s[0:1], 0xa4
	s_load_b256 s[16:23], s[0:1], 0x18
	v_bfe_u32 v1, v0, 20, 10
	s_add_u32 s24, s0, 0x98
	s_addc_u32 s25, s1, 0
	v_bfe_u32 v6, v0, 10, 10
	s_waitcnt lgkmcnt(0)
	s_and_b32 s3, s3, 0xffff
	s_and_b32 s12, s2, 0xffff
	v_mad_u64_u32 v[2:3], null, s15, s3, v[1:2]
	v_and_b32_e32 v3, 0x3ff, v0
	s_lshr_b32 s3, s2, 16
	s_delay_alu instid0(VALU_DEP_2) | instskip(NEXT) | instid1(VALU_DEP_1)
	v_mul_hi_u32 v1, v2, s19
	v_add_nc_u32_e32 v1, v2, v1
	s_delay_alu instid0(VALU_DEP_1) | instskip(SKIP_2) | instid1(VALU_DEP_3)
	v_lshrrev_b32_e32 v5, s20, v1
	v_mad_u64_u32 v[0:1], null, s13, s12, v[3:4]
	v_mad_u64_u32 v[3:4], null, s14, s3, v[6:7]
	v_mul_lo_u32 v1, v5, s21
	v_cmp_gt_u32_e64 s3, s18, v5
	s_delay_alu instid0(VALU_DEP_4) | instskip(NEXT) | instid1(VALU_DEP_4)
	v_cmp_gt_u32_e32 vcc_lo, s16, v0
	v_cmp_gt_u32_e64 s2, s17, v3
	s_delay_alu instid0(VALU_DEP_4) | instskip(NEXT) | instid1(VALU_DEP_2)
	v_sub_nc_u32_e32 v4, v2, v1
	s_and_b32 s2, vcc_lo, s2
	s_delay_alu instid0(SALU_CYCLE_1) | instskip(NEXT) | instid1(VALU_DEP_1)
	s_and_b32 s2, s2, s3
	v_cmp_gt_u32_e64 s4, s21, v4
	s_delay_alu instid0(VALU_DEP_1) | instskip(NEXT) | instid1(SALU_CYCLE_1)
	s_and_b32 s2, s2, s4
	s_and_saveexec_b32 s3, s2
	s_cbranch_execz .LBB13_6
; %bb.1:
	v_cmp_gt_i32_e32 vcc_lo, s16, v0
	s_and_b32 exec_lo, exec_lo, vcc_lo
	s_cbranch_execz .LBB13_6
; %bb.2:
	s_clause 0x2
	s_load_b256 s[36:43], s[0:1], 0x3c
	s_load_b256 s[4:11], s[0:1], 0x60
	s_load_b32 s13, s[0:1], 0x5c
	s_load_b32 s17, s[24:25], 0x0
	s_clause 0x4
	s_load_b128 s[24:27], s[0:1], 0x80
	s_load_b64 s[2:3], s[0:1], 0x0
	s_load_b32 s18, s[0:1], 0x38
	s_load_b64 s[14:15], s[0:1], 0x10
	s_load_b64 s[0:1], s[0:1], 0x90
	s_waitcnt lgkmcnt(0)
	v_mul_hi_u32 v1, s39, v5
	v_mov_b32_e32 v2, 0
	v_mul_hi_u32 v6, s42, v4
	v_mul_hi_u32 v7, s36, v3
	v_mul_lo_u32 v8, v4, s10
	v_mul_lo_u32 v9, v5, s9
	;; [unrolled: 1-line block ×4, first 2 shown]
	v_add_nc_u32_e32 v1, v5, v1
	v_mul_lo_u32 v12, v4, s6
	v_add_nc_u32_e32 v6, v4, v6
	v_add_nc_u32_e32 v7, v3, v7
	v_mul_lo_u32 v14, v3, s4
	v_lshrrev_b32_e32 v1, s40, v1
	s_cmp_lg_u64 s[2:3], 0
	s_delay_alu instid0(VALU_DEP_3) | instskip(NEXT) | instid1(VALU_DEP_2)
	v_lshrrev_b32_e32 v7, s37, v7
	v_mul_lo_u32 v11, v1, s41
	v_add3_u32 v1, v9, v10, v8
	s_delay_alu instid0(VALU_DEP_3) | instskip(NEXT) | instid1(VALU_DEP_3)
	v_mul_lo_u32 v7, v7, s38
	v_sub_nc_u32_e32 v8, v5, v11
	v_mov_b32_e32 v5, v2
	v_lshrrev_b32_e32 v6, s43, v6
	s_delay_alu instid0(VALU_DEP_4) | instskip(NEXT) | instid1(VALU_DEP_2)
	v_sub_nc_u32_e32 v3, v3, v7
	v_mul_lo_u32 v6, v6, s13
	s_delay_alu instid0(VALU_DEP_2) | instskip(SKIP_1) | instid1(VALU_DEP_3)
	v_mul_lo_u32 v9, v3, s24
	v_mul_lo_u32 v3, s7, v0
	v_sub_nc_u32_e32 v4, v4, v6
	v_lshlrev_b64 v[6:7], 1, v[1:2]
	v_mul_lo_u32 v1, v8, s25
	s_delay_alu instid0(VALU_DEP_3) | instskip(SKIP_1) | instid1(VALU_DEP_4)
	v_mul_lo_u32 v8, v4, s26
	v_add3_u32 v4, v13, v14, v12
	v_add_co_u32 v10, vcc_lo, s2, v6
	v_add_co_ci_u32_e32 v6, vcc_lo, s3, v7, vcc_lo
	s_cselect_b32 vcc_lo, -1, 0
	s_mul_i32 s2, s17, s12
	s_delay_alu instid0(VALU_DEP_4) | instskip(NEXT) | instid1(VALU_DEP_2)
	v_add3_u32 v1, v1, v8, v9
	v_cndmask_b32_e32 v6, 0, v6, vcc_lo
	v_lshlrev_b64 v[7:8], 1, v[4:5]
	v_cndmask_b32_e32 v5, 0, v10, vcc_lo
	s_mov_b32 s3, 0
	v_lshlrev_b64 v[9:10], 2, v[1:2]
	s_mul_i32 s4, s2, s7
	s_sub_i32 s5, 0, s18
	v_add_co_u32 v7, vcc_lo, s14, v7
	v_add_co_ci_u32_e32 v8, vcc_lo, s15, v8, vcc_lo
	s_delay_alu instid0(VALU_DEP_3)
	v_add_co_u32 v9, s0, s0, v9
	v_cmp_ne_u64_e32 vcc_lo, 0, v[5:6]
	v_add_co_ci_u32_e64 v10, s0, s1, v10, s0
	s_branch .LBB13_4
.LBB13_3:                               ;   in Loop: Header=BB13_4 Depth=1
	s_or_b32 exec_lo, exec_lo, s1
	v_mul_hi_u32 v1, s22, v0
	v_add_nc_u32_e32 v3, s4, v3
	s_delay_alu instid0(VALU_DEP_2) | instskip(NEXT) | instid1(VALU_DEP_1)
	v_add_nc_u32_e32 v1, v0, v1
	v_lshrrev_b32_e32 v1, s23, v1
	s_delay_alu instid0(VALU_DEP_1) | instskip(NEXT) | instid1(VALU_DEP_1)
	v_mad_u64_u32 v[11:12], null, s5, v1, v[0:1]
	v_mul_lo_u32 v1, v11, s11
	s_delay_alu instid0(VALU_DEP_1) | instskip(SKIP_1) | instid1(VALU_DEP_2)
	v_lshlrev_b64 v[11:12], 2, v[1:2]
	v_ashrrev_i32_e32 v1, 31, v0
	v_add_co_u32 v11, s0, v9, v11
	s_delay_alu instid0(VALU_DEP_1) | instskip(SKIP_3) | instid1(VALU_DEP_2)
	v_add_co_ci_u32_e64 v12, s0, v10, v12, s0
	global_load_b32 v13, v[11:12], off
	v_lshlrev_b64 v[11:12], 1, v[0:1]
	v_add_nc_u32_e32 v0, s2, v0
	v_add_co_u32 v11, s1, v7, v11
	s_delay_alu instid0(VALU_DEP_1) | instskip(SKIP_3) | instid1(VALU_DEP_2)
	v_add_co_ci_u32_e64 v12, s1, v8, v12, s1
	s_waitcnt vmcnt(0)
	v_add_f32_e32 v1, v4, v13
	v_cmp_le_i32_e64 s0, s16, v0
	v_cvt_f16_f32_e32 v1, v1
	s_delay_alu instid0(VALU_DEP_2)
	s_or_b32 s3, s0, s3
	global_store_b16 v[11:12], v1, off
	s_and_not1_b32 exec_lo, exec_lo, s3
	s_cbranch_execz .LBB13_6
.LBB13_4:                               ; =>This Inner Loop Header: Depth=1
	v_mov_b32_e32 v4, 0
	s_and_saveexec_b32 s1, vcc_lo
	s_cbranch_execz .LBB13_3
; %bb.5:                                ;   in Loop: Header=BB13_4 Depth=1
	v_ashrrev_i32_e32 v4, 31, v3
	s_delay_alu instid0(VALU_DEP_1) | instskip(NEXT) | instid1(VALU_DEP_1)
	v_lshlrev_b64 v[11:12], 1, v[3:4]
	v_add_co_u32 v11, s0, v5, v11
	s_delay_alu instid0(VALU_DEP_1)
	v_add_co_ci_u32_e64 v12, s0, v6, v12, s0
	global_load_u16 v1, v[11:12], off
	s_waitcnt vmcnt(0)
	v_cvt_f32_f16_e32 v4, v1
	s_branch .LBB13_3
.LBB13_6:
	s_nop 0
	s_sendmsg sendmsg(MSG_DEALLOC_VGPRS)
	s_endpgm
	.section	.rodata,"a",@progbits
	.p2align	6, 0x0
	.amdhsa_kernel _ZL11k_bin_bcastIXadL_ZL6op_addffEE6__halffS0_JPKfEEvPKT0_PKT1_PT2_iii15HIP_vector_typeIjLj3EESC_SC_SC_SC_iiiiiiiiiiiDpT3_
		.amdhsa_group_segment_fixed_size 0
		.amdhsa_private_segment_fixed_size 0
		.amdhsa_kernarg_size 408
		.amdhsa_user_sgpr_count 13
		.amdhsa_user_sgpr_dispatch_ptr 0
		.amdhsa_user_sgpr_queue_ptr 0
		.amdhsa_user_sgpr_kernarg_segment_ptr 1
		.amdhsa_user_sgpr_dispatch_id 0
		.amdhsa_user_sgpr_private_segment_size 0
		.amdhsa_wavefront_size32 1
		.amdhsa_uses_dynamic_stack 0
		.amdhsa_enable_private_segment 0
		.amdhsa_system_sgpr_workgroup_id_x 1
		.amdhsa_system_sgpr_workgroup_id_y 1
		.amdhsa_system_sgpr_workgroup_id_z 1
		.amdhsa_system_sgpr_workgroup_info 0
		.amdhsa_system_vgpr_workitem_id 2
		.amdhsa_next_free_vgpr 15
		.amdhsa_next_free_sgpr 44
		.amdhsa_reserve_vcc 1
		.amdhsa_float_round_mode_32 0
		.amdhsa_float_round_mode_16_64 0
		.amdhsa_float_denorm_mode_32 3
		.amdhsa_float_denorm_mode_16_64 3
		.amdhsa_dx10_clamp 1
		.amdhsa_ieee_mode 1
		.amdhsa_fp16_overflow 0
		.amdhsa_workgroup_processor_mode 1
		.amdhsa_memory_ordered 1
		.amdhsa_forward_progress 0
		.amdhsa_shared_vgpr_count 0
		.amdhsa_exception_fp_ieee_invalid_op 0
		.amdhsa_exception_fp_denorm_src 0
		.amdhsa_exception_fp_ieee_div_zero 0
		.amdhsa_exception_fp_ieee_overflow 0
		.amdhsa_exception_fp_ieee_underflow 0
		.amdhsa_exception_fp_ieee_inexact 0
		.amdhsa_exception_int_div_zero 0
	.end_amdhsa_kernel
	.section	.text._ZL11k_bin_bcastIXadL_ZL6op_addffEE6__halffS0_JPKfEEvPKT0_PKT1_PT2_iii15HIP_vector_typeIjLj3EESC_SC_SC_SC_iiiiiiiiiiiDpT3_,"axG",@progbits,_ZL11k_bin_bcastIXadL_ZL6op_addffEE6__halffS0_JPKfEEvPKT0_PKT1_PT2_iii15HIP_vector_typeIjLj3EESC_SC_SC_SC_iiiiiiiiiiiDpT3_,comdat
.Lfunc_end13:
	.size	_ZL11k_bin_bcastIXadL_ZL6op_addffEE6__halffS0_JPKfEEvPKT0_PKT1_PT2_iii15HIP_vector_typeIjLj3EESC_SC_SC_SC_iiiiiiiiiiiDpT3_, .Lfunc_end13-_ZL11k_bin_bcastIXadL_ZL6op_addffEE6__halffS0_JPKfEEvPKT0_PKT1_PT2_iii15HIP_vector_typeIjLj3EESC_SC_SC_SC_iiiiiiiiiiiDpT3_
                                        ; -- End function
	.section	.AMDGPU.csdata,"",@progbits
; Kernel info:
; codeLenInByte = 876
; NumSgprs: 46
; NumVgprs: 15
; ScratchSize: 0
; MemoryBound: 0
; FloatMode: 240
; IeeeMode: 1
; LDSByteSize: 0 bytes/workgroup (compile time only)
; SGPRBlocks: 5
; VGPRBlocks: 1
; NumSGPRsForWavesPerEU: 46
; NumVGPRsForWavesPerEU: 15
; Occupancy: 16
; WaveLimiterHint : 1
; COMPUTE_PGM_RSRC2:SCRATCH_EN: 0
; COMPUTE_PGM_RSRC2:USER_SGPR: 13
; COMPUTE_PGM_RSRC2:TRAP_HANDLER: 0
; COMPUTE_PGM_RSRC2:TGID_X_EN: 1
; COMPUTE_PGM_RSRC2:TGID_Y_EN: 1
; COMPUTE_PGM_RSRC2:TGID_Z_EN: 1
; COMPUTE_PGM_RSRC2:TIDIG_COMP_CNT: 2
	.section	.text._ZL19k_bin_bcast_unravelIXadL_ZL6op_addffEE6__halfffJPKfEEvPKT0_PKT1_PT2_15HIP_vector_typeIjLj3EESC_SC_jSC_SC_SC_SC_SC_SC_iiiiiiiiiiiDpT3_,"axG",@progbits,_ZL19k_bin_bcast_unravelIXadL_ZL6op_addffEE6__halfffJPKfEEvPKT0_PKT1_PT2_15HIP_vector_typeIjLj3EESC_SC_jSC_SC_SC_SC_SC_SC_iiiiiiiiiiiDpT3_,comdat
	.globl	_ZL19k_bin_bcast_unravelIXadL_ZL6op_addffEE6__halfffJPKfEEvPKT0_PKT1_PT2_15HIP_vector_typeIjLj3EESC_SC_jSC_SC_SC_SC_SC_SC_iiiiiiiiiiiDpT3_ ; -- Begin function _ZL19k_bin_bcast_unravelIXadL_ZL6op_addffEE6__halfffJPKfEEvPKT0_PKT1_PT2_15HIP_vector_typeIjLj3EESC_SC_jSC_SC_SC_SC_SC_SC_iiiiiiiiiiiDpT3_
	.p2align	8
	.type	_ZL19k_bin_bcast_unravelIXadL_ZL6op_addffEE6__halfffJPKfEEvPKT0_PKT1_PT2_15HIP_vector_typeIjLj3EESC_SC_jSC_SC_SC_SC_SC_SC_iiiiiiiiiiiDpT3_,@function
_ZL19k_bin_bcast_unravelIXadL_ZL6op_addffEE6__halfffJPKfEEvPKT0_PKT1_PT2_15HIP_vector_typeIjLj3EESC_SC_jSC_SC_SC_SC_SC_SC_iiiiiiiiiiiDpT3_: ; @_ZL19k_bin_bcast_unravelIXadL_ZL6op_addffEE6__halfffJPKfEEvPKT0_PKT1_PT2_15HIP_vector_typeIjLj3EESC_SC_jSC_SC_SC_SC_SC_SC_iiiiiiiiiiiDpT3_
; %bb.0:
	s_clause 0x1
	s_load_b32 s2, s[0:1], 0xcc
	s_load_b256 s[4:11], s[0:1], 0x38
	s_waitcnt lgkmcnt(0)
	s_and_b32 s2, s2, 0xffff
	s_delay_alu instid0(SALU_CYCLE_1) | instskip(SKIP_3) | instid1(VALU_DEP_1)
	v_mad_u64_u32 v[2:3], null, s15, s2, v[0:1]
	s_clause 0x1
	s_load_b128 s[12:15], s[0:1], 0x18
	s_load_b32 s2, s[0:1], 0x2c
	v_mul_hi_u32 v0, v2, s6
	s_delay_alu instid0(VALU_DEP_1) | instskip(NEXT) | instid1(VALU_DEP_1)
	v_add_nc_u32_e32 v0, v2, v0
	v_lshrrev_b32_e32 v1, s7, v0
	s_delay_alu instid0(VALU_DEP_1) | instskip(NEXT) | instid1(VALU_DEP_1)
	v_mul_lo_u32 v0, v1, s8
	v_sub_nc_u32_e32 v0, v2, v0
	s_delay_alu instid0(VALU_DEP_1) | instskip(NEXT) | instid1(VALU_DEP_1)
	v_mul_hi_u32 v2, v0, s9
	v_add_nc_u32_e32 v2, v0, v2
	s_delay_alu instid0(VALU_DEP_1) | instskip(NEXT) | instid1(VALU_DEP_1)
	v_lshrrev_b32_e32 v2, s10, v2
	v_mul_lo_u32 v3, v2, s11
	v_cmp_gt_u32_e64 s3, s4, v2
	v_cmp_gt_u32_e64 s4, s5, v1
	s_delay_alu instid0(VALU_DEP_3) | instskip(SKIP_1) | instid1(VALU_DEP_1)
	v_sub_nc_u32_e32 v0, v0, v3
	s_waitcnt lgkmcnt(0)
	v_mul_hi_u32 v3, v0, s12
	s_delay_alu instid0(VALU_DEP_1) | instskip(NEXT) | instid1(VALU_DEP_1)
	v_add_nc_u32_e32 v3, v0, v3
	v_lshrrev_b32_e32 v3, s13, v3
	s_delay_alu instid0(VALU_DEP_1) | instskip(SKIP_1) | instid1(VALU_DEP_2)
	v_mul_lo_u32 v4, v3, s14
	v_cmp_gt_u32_e64 s2, s2, v3
	v_sub_nc_u32_e32 v0, v0, v4
	s_delay_alu instid0(VALU_DEP_1) | instskip(NEXT) | instid1(VALU_DEP_3)
	v_cmp_gt_u32_e32 vcc_lo, s14, v0
	s_and_b32 s2, vcc_lo, s2
	s_delay_alu instid0(SALU_CYCLE_1) | instskip(NEXT) | instid1(SALU_CYCLE_1)
	s_and_b32 s2, s2, s3
	s_and_b32 s2, s4, s2
	s_delay_alu instid0(SALU_CYCLE_1)
	s_and_saveexec_b32 s3, s2
	s_cbranch_execz .LBB14_5
; %bb.1:
	s_clause 0x4
	s_load_b64 s[2:3], s[0:1], 0x0
	s_load_b128 s[20:23], s[0:1], 0xa8
	s_load_b256 s[4:11], s[0:1], 0x88
	s_load_b128 s[24:27], s[0:1], 0x78
	s_load_b256 s[12:19], s[0:1], 0x58
	s_waitcnt lgkmcnt(0)
	s_cmp_eq_u64 s[2:3], 0
	s_cbranch_scc1 .LBB14_3
; %bb.2:
	v_mul_lo_u32 v4, v1, s10
	v_mul_lo_u32 v6, v2, s9
	;; [unrolled: 1-line block ×3, first 2 shown]
	v_mov_b32_e32 v5, 0
	s_delay_alu instid0(VALU_DEP_2) | instskip(NEXT) | instid1(VALU_DEP_1)
	v_add3_u32 v4, v6, v4, v7
	v_lshlrev_b64 v[6:7], 1, v[4:5]
	v_mul_lo_u32 v4, v0, s7
	s_delay_alu instid0(VALU_DEP_2) | instskip(NEXT) | instid1(VALU_DEP_3)
	v_add_co_u32 v6, vcc_lo, s2, v6
	v_add_co_ci_u32_e32 v7, vcc_lo, s3, v7, vcc_lo
	s_delay_alu instid0(VALU_DEP_3) | instskip(NEXT) | instid1(VALU_DEP_1)
	v_lshlrev_b64 v[4:5], 1, v[4:5]
	v_add_co_u32 v4, vcc_lo, v6, v4
	s_delay_alu instid0(VALU_DEP_2)
	v_add_co_ci_u32_e32 v5, vcc_lo, v7, v5, vcc_lo
	global_load_u16 v4, v[4:5], off
	s_waitcnt vmcnt(0)
	v_cvt_f32_f16_e32 v4, v4
	s_branch .LBB14_4
.LBB14_3:
	v_mov_b32_e32 v4, 0
.LBB14_4:
	v_mul_hi_u32 v5, s25, v1
	v_mul_hi_u32 v6, s18, v2
	v_mul_hi_u32 v7, s15, v3
	v_mul_hi_u32 v8, s12, v0
	s_clause 0x1
	s_load_b64 s[2:3], s[0:1], 0xb8
	s_load_b64 s[0:1], s[0:1], 0x10
	s_delay_alu instid0(VALU_DEP_4) | instskip(NEXT) | instid1(VALU_DEP_4)
	v_add_nc_u32_e32 v5, v1, v5
	v_add_nc_u32_e32 v6, v2, v6
	s_delay_alu instid0(VALU_DEP_4) | instskip(NEXT) | instid1(VALU_DEP_4)
	v_add_nc_u32_e32 v7, v3, v7
	v_add_nc_u32_e32 v8, v0, v8
	s_delay_alu instid0(VALU_DEP_4) | instskip(NEXT) | instid1(VALU_DEP_4)
	v_lshrrev_b32_e32 v5, s26, v5
	v_lshrrev_b32_e32 v6, s19, v6
	s_delay_alu instid0(VALU_DEP_4) | instskip(NEXT) | instid1(VALU_DEP_4)
	v_lshrrev_b32_e32 v7, s16, v7
	v_lshrrev_b32_e32 v8, s13, v8
	s_delay_alu instid0(VALU_DEP_4) | instskip(NEXT) | instid1(VALU_DEP_4)
	v_mul_lo_u32 v5, v5, s27
	v_mul_lo_u32 v6, v6, s24
	s_delay_alu instid0(VALU_DEP_4) | instskip(NEXT) | instid1(VALU_DEP_4)
	v_mul_lo_u32 v7, v7, s17
	v_mul_lo_u32 v8, v8, s14
	s_delay_alu instid0(VALU_DEP_4) | instskip(NEXT) | instid1(VALU_DEP_4)
	v_sub_nc_u32_e32 v5, v1, v5
	v_sub_nc_u32_e32 v6, v2, v6
	s_delay_alu instid0(VALU_DEP_4) | instskip(NEXT) | instid1(VALU_DEP_4)
	v_sub_nc_u32_e32 v7, v3, v7
	v_sub_nc_u32_e32 v8, v0, v8
	v_mul_lo_u32 v1, v1, s6
	v_mul_lo_u32 v5, v5, s22
	;; [unrolled: 1-line block ×5, first 2 shown]
	s_delay_alu instid0(VALU_DEP_2) | instskip(SKIP_1) | instid1(VALU_DEP_2)
	v_add3_u32 v5, v6, v5, v7
	v_mul_lo_u32 v7, v8, s11
	v_ashrrev_i32_e32 v6, 31, v5
	s_delay_alu instid0(VALU_DEP_2) | instskip(NEXT) | instid1(VALU_DEP_2)
	v_ashrrev_i32_e32 v8, 31, v7
	v_lshlrev_b64 v[5:6], 2, v[5:6]
	s_delay_alu instid0(VALU_DEP_2) | instskip(SKIP_1) | instid1(VALU_DEP_2)
	v_lshlrev_b64 v[7:8], 2, v[7:8]
	s_waitcnt lgkmcnt(0)
	v_add_co_u32 v5, vcc_lo, s2, v5
	s_delay_alu instid0(VALU_DEP_3) | instskip(NEXT) | instid1(VALU_DEP_2)
	v_add_co_ci_u32_e32 v6, vcc_lo, s3, v6, vcc_lo
	v_add_co_u32 v5, vcc_lo, v5, v7
	s_delay_alu instid0(VALU_DEP_2) | instskip(SKIP_3) | instid1(VALU_DEP_2)
	v_add_co_ci_u32_e32 v6, vcc_lo, v6, v8, vcc_lo
	global_load_b32 v5, v[5:6], off
	v_mul_lo_u32 v6, v3, s4
	v_mov_b32_e32 v3, 0
	v_add3_u32 v2, v2, v1, v6
	s_delay_alu instid0(VALU_DEP_2) | instskip(NEXT) | instid1(VALU_DEP_2)
	v_mov_b32_e32 v1, v3
	v_lshlrev_b64 v[2:3], 2, v[2:3]
	s_delay_alu instid0(VALU_DEP_2) | instskip(NEXT) | instid1(VALU_DEP_2)
	v_lshlrev_b64 v[0:1], 2, v[0:1]
	v_add_co_u32 v2, vcc_lo, s0, v2
	s_delay_alu instid0(VALU_DEP_3) | instskip(NEXT) | instid1(VALU_DEP_2)
	v_add_co_ci_u32_e32 v3, vcc_lo, s1, v3, vcc_lo
	v_add_co_u32 v0, vcc_lo, v2, v0
	s_delay_alu instid0(VALU_DEP_2)
	v_add_co_ci_u32_e32 v1, vcc_lo, v3, v1, vcc_lo
	s_waitcnt vmcnt(0)
	v_add_f32_e32 v4, v4, v5
	global_store_b32 v[0:1], v4, off
.LBB14_5:
	s_nop 0
	s_sendmsg sendmsg(MSG_DEALLOC_VGPRS)
	s_endpgm
	.section	.rodata,"a",@progbits
	.p2align	6, 0x0
	.amdhsa_kernel _ZL19k_bin_bcast_unravelIXadL_ZL6op_addffEE6__halfffJPKfEEvPKT0_PKT1_PT2_15HIP_vector_typeIjLj3EESC_SC_jSC_SC_SC_SC_SC_SC_iiiiiiiiiiiDpT3_
		.amdhsa_group_segment_fixed_size 0
		.amdhsa_private_segment_fixed_size 0
		.amdhsa_kernarg_size 448
		.amdhsa_user_sgpr_count 15
		.amdhsa_user_sgpr_dispatch_ptr 0
		.amdhsa_user_sgpr_queue_ptr 0
		.amdhsa_user_sgpr_kernarg_segment_ptr 1
		.amdhsa_user_sgpr_dispatch_id 0
		.amdhsa_user_sgpr_private_segment_size 0
		.amdhsa_wavefront_size32 1
		.amdhsa_uses_dynamic_stack 0
		.amdhsa_enable_private_segment 0
		.amdhsa_system_sgpr_workgroup_id_x 1
		.amdhsa_system_sgpr_workgroup_id_y 0
		.amdhsa_system_sgpr_workgroup_id_z 0
		.amdhsa_system_sgpr_workgroup_info 0
		.amdhsa_system_vgpr_workitem_id 0
		.amdhsa_next_free_vgpr 9
		.amdhsa_next_free_sgpr 28
		.amdhsa_reserve_vcc 1
		.amdhsa_float_round_mode_32 0
		.amdhsa_float_round_mode_16_64 0
		.amdhsa_float_denorm_mode_32 3
		.amdhsa_float_denorm_mode_16_64 3
		.amdhsa_dx10_clamp 1
		.amdhsa_ieee_mode 1
		.amdhsa_fp16_overflow 0
		.amdhsa_workgroup_processor_mode 1
		.amdhsa_memory_ordered 1
		.amdhsa_forward_progress 0
		.amdhsa_shared_vgpr_count 0
		.amdhsa_exception_fp_ieee_invalid_op 0
		.amdhsa_exception_fp_denorm_src 0
		.amdhsa_exception_fp_ieee_div_zero 0
		.amdhsa_exception_fp_ieee_overflow 0
		.amdhsa_exception_fp_ieee_underflow 0
		.amdhsa_exception_fp_ieee_inexact 0
		.amdhsa_exception_int_div_zero 0
	.end_amdhsa_kernel
	.section	.text._ZL19k_bin_bcast_unravelIXadL_ZL6op_addffEE6__halfffJPKfEEvPKT0_PKT1_PT2_15HIP_vector_typeIjLj3EESC_SC_jSC_SC_SC_SC_SC_SC_iiiiiiiiiiiDpT3_,"axG",@progbits,_ZL19k_bin_bcast_unravelIXadL_ZL6op_addffEE6__halfffJPKfEEvPKT0_PKT1_PT2_15HIP_vector_typeIjLj3EESC_SC_jSC_SC_SC_SC_SC_SC_iiiiiiiiiiiDpT3_,comdat
.Lfunc_end14:
	.size	_ZL19k_bin_bcast_unravelIXadL_ZL6op_addffEE6__halfffJPKfEEvPKT0_PKT1_PT2_15HIP_vector_typeIjLj3EESC_SC_jSC_SC_SC_SC_SC_SC_iiiiiiiiiiiDpT3_, .Lfunc_end14-_ZL19k_bin_bcast_unravelIXadL_ZL6op_addffEE6__halfffJPKfEEvPKT0_PKT1_PT2_15HIP_vector_typeIjLj3EESC_SC_jSC_SC_SC_SC_SC_SC_iiiiiiiiiiiDpT3_
                                        ; -- End function
	.section	.AMDGPU.csdata,"",@progbits
; Kernel info:
; codeLenInByte = 828
; NumSgprs: 30
; NumVgprs: 9
; ScratchSize: 0
; MemoryBound: 0
; FloatMode: 240
; IeeeMode: 1
; LDSByteSize: 0 bytes/workgroup (compile time only)
; SGPRBlocks: 3
; VGPRBlocks: 1
; NumSGPRsForWavesPerEU: 30
; NumVGPRsForWavesPerEU: 9
; Occupancy: 16
; WaveLimiterHint : 1
; COMPUTE_PGM_RSRC2:SCRATCH_EN: 0
; COMPUTE_PGM_RSRC2:USER_SGPR: 15
; COMPUTE_PGM_RSRC2:TRAP_HANDLER: 0
; COMPUTE_PGM_RSRC2:TGID_X_EN: 1
; COMPUTE_PGM_RSRC2:TGID_Y_EN: 0
; COMPUTE_PGM_RSRC2:TGID_Z_EN: 0
; COMPUTE_PGM_RSRC2:TIDIG_COMP_CNT: 0
	.section	.text._ZL11k_bin_bcastIXadL_ZL6op_addffEE6__halfffJPKfEEvPKT0_PKT1_PT2_iii15HIP_vector_typeIjLj3EESC_SC_SC_SC_iiiiiiiiiiiDpT3_,"axG",@progbits,_ZL11k_bin_bcastIXadL_ZL6op_addffEE6__halfffJPKfEEvPKT0_PKT1_PT2_iii15HIP_vector_typeIjLj3EESC_SC_SC_SC_iiiiiiiiiiiDpT3_,comdat
	.globl	_ZL11k_bin_bcastIXadL_ZL6op_addffEE6__halfffJPKfEEvPKT0_PKT1_PT2_iii15HIP_vector_typeIjLj3EESC_SC_SC_SC_iiiiiiiiiiiDpT3_ ; -- Begin function _ZL11k_bin_bcastIXadL_ZL6op_addffEE6__halfffJPKfEEvPKT0_PKT1_PT2_iii15HIP_vector_typeIjLj3EESC_SC_SC_SC_iiiiiiiiiiiDpT3_
	.p2align	8
	.type	_ZL11k_bin_bcastIXadL_ZL6op_addffEE6__halfffJPKfEEvPKT0_PKT1_PT2_iii15HIP_vector_typeIjLj3EESC_SC_SC_SC_iiiiiiiiiiiDpT3_,@function
_ZL11k_bin_bcastIXadL_ZL6op_addffEE6__halfffJPKfEEvPKT0_PKT1_PT2_iii15HIP_vector_typeIjLj3EESC_SC_SC_SC_iiiiiiiiiiiDpT3_: ; @_ZL11k_bin_bcastIXadL_ZL6op_addffEE6__halfffJPKfEEvPKT0_PKT1_PT2_iii15HIP_vector_typeIjLj3EESC_SC_SC_SC_iiiiiiiiiiiDpT3_
; %bb.0:
	s_clause 0x1
	s_load_b64 s[2:3], s[0:1], 0xa4
	s_load_b256 s[16:23], s[0:1], 0x18
	v_bfe_u32 v1, v0, 20, 10
	s_add_u32 s24, s0, 0x98
	s_addc_u32 s25, s1, 0
	v_bfe_u32 v6, v0, 10, 10
	s_waitcnt lgkmcnt(0)
	s_and_b32 s3, s3, 0xffff
	s_and_b32 s12, s2, 0xffff
	v_mad_u64_u32 v[2:3], null, s15, s3, v[1:2]
	v_and_b32_e32 v3, 0x3ff, v0
	s_lshr_b32 s3, s2, 16
	s_delay_alu instid0(VALU_DEP_2) | instskip(NEXT) | instid1(VALU_DEP_1)
	v_mul_hi_u32 v1, v2, s19
	v_add_nc_u32_e32 v1, v2, v1
	s_delay_alu instid0(VALU_DEP_1) | instskip(SKIP_2) | instid1(VALU_DEP_3)
	v_lshrrev_b32_e32 v5, s20, v1
	v_mad_u64_u32 v[0:1], null, s13, s12, v[3:4]
	v_mad_u64_u32 v[3:4], null, s14, s3, v[6:7]
	v_mul_lo_u32 v1, v5, s21
	v_cmp_gt_u32_e64 s3, s18, v5
	s_delay_alu instid0(VALU_DEP_4) | instskip(NEXT) | instid1(VALU_DEP_4)
	v_cmp_gt_u32_e32 vcc_lo, s16, v0
	v_cmp_gt_u32_e64 s2, s17, v3
	s_delay_alu instid0(VALU_DEP_4) | instskip(NEXT) | instid1(VALU_DEP_2)
	v_sub_nc_u32_e32 v4, v2, v1
	s_and_b32 s2, vcc_lo, s2
	s_delay_alu instid0(SALU_CYCLE_1) | instskip(NEXT) | instid1(VALU_DEP_1)
	s_and_b32 s2, s2, s3
	v_cmp_gt_u32_e64 s4, s21, v4
	s_delay_alu instid0(VALU_DEP_1) | instskip(NEXT) | instid1(SALU_CYCLE_1)
	s_and_b32 s2, s2, s4
	s_and_saveexec_b32 s3, s2
	s_cbranch_execz .LBB15_6
; %bb.1:
	v_cmp_gt_i32_e32 vcc_lo, s16, v0
	s_and_b32 exec_lo, exec_lo, vcc_lo
	s_cbranch_execz .LBB15_6
; %bb.2:
	s_clause 0x2
	s_load_b256 s[36:43], s[0:1], 0x3c
	s_load_b256 s[4:11], s[0:1], 0x60
	s_load_b32 s13, s[0:1], 0x5c
	s_load_b32 s17, s[24:25], 0x0
	s_clause 0x4
	s_load_b128 s[24:27], s[0:1], 0x80
	s_load_b64 s[2:3], s[0:1], 0x0
	s_load_b32 s18, s[0:1], 0x38
	s_load_b64 s[14:15], s[0:1], 0x10
	s_load_b64 s[0:1], s[0:1], 0x90
	s_waitcnt lgkmcnt(0)
	v_mul_hi_u32 v1, s39, v5
	v_mov_b32_e32 v2, 0
	v_mul_hi_u32 v6, s42, v4
	v_mul_hi_u32 v7, s36, v3
	v_mul_lo_u32 v8, v4, s10
	v_mul_lo_u32 v9, v5, s9
	;; [unrolled: 1-line block ×4, first 2 shown]
	v_add_nc_u32_e32 v1, v5, v1
	v_mul_lo_u32 v12, v4, s6
	v_add_nc_u32_e32 v6, v4, v6
	v_add_nc_u32_e32 v7, v3, v7
	v_mul_lo_u32 v14, v3, s4
	v_lshrrev_b32_e32 v1, s40, v1
	s_cmp_lg_u64 s[2:3], 0
	s_delay_alu instid0(VALU_DEP_3) | instskip(NEXT) | instid1(VALU_DEP_2)
	v_lshrrev_b32_e32 v7, s37, v7
	v_mul_lo_u32 v11, v1, s41
	v_add3_u32 v1, v9, v10, v8
	s_delay_alu instid0(VALU_DEP_3) | instskip(NEXT) | instid1(VALU_DEP_3)
	v_mul_lo_u32 v7, v7, s38
	v_sub_nc_u32_e32 v8, v5, v11
	v_mov_b32_e32 v5, v2
	v_lshrrev_b32_e32 v6, s43, v6
	s_delay_alu instid0(VALU_DEP_4) | instskip(NEXT) | instid1(VALU_DEP_2)
	v_sub_nc_u32_e32 v3, v3, v7
	v_mul_lo_u32 v6, v6, s13
	s_delay_alu instid0(VALU_DEP_2) | instskip(SKIP_1) | instid1(VALU_DEP_3)
	v_mul_lo_u32 v9, v3, s24
	v_mul_lo_u32 v3, s7, v0
	v_sub_nc_u32_e32 v4, v4, v6
	v_lshlrev_b64 v[6:7], 1, v[1:2]
	v_mul_lo_u32 v1, v8, s25
	s_delay_alu instid0(VALU_DEP_3) | instskip(SKIP_1) | instid1(VALU_DEP_4)
	v_mul_lo_u32 v8, v4, s26
	v_add3_u32 v4, v13, v14, v12
	v_add_co_u32 v10, vcc_lo, s2, v6
	v_add_co_ci_u32_e32 v6, vcc_lo, s3, v7, vcc_lo
	s_cselect_b32 vcc_lo, -1, 0
	s_mul_i32 s2, s17, s12
	s_delay_alu instid0(VALU_DEP_4) | instskip(NEXT) | instid1(VALU_DEP_2)
	v_add3_u32 v1, v1, v8, v9
	v_cndmask_b32_e32 v6, 0, v6, vcc_lo
	v_lshlrev_b64 v[7:8], 2, v[4:5]
	v_cndmask_b32_e32 v5, 0, v10, vcc_lo
	s_mov_b32 s3, 0
	v_lshlrev_b64 v[9:10], 2, v[1:2]
	s_mul_i32 s4, s2, s7
	s_sub_i32 s5, 0, s18
	v_add_co_u32 v7, vcc_lo, s14, v7
	v_add_co_ci_u32_e32 v8, vcc_lo, s15, v8, vcc_lo
	s_delay_alu instid0(VALU_DEP_3)
	v_add_co_u32 v9, s0, s0, v9
	v_cmp_ne_u64_e32 vcc_lo, 0, v[5:6]
	v_add_co_ci_u32_e64 v10, s0, s1, v10, s0
	s_set_inst_prefetch_distance 0x1
	s_branch .LBB15_4
	.p2align	6
.LBB15_3:                               ;   in Loop: Header=BB15_4 Depth=1
	s_or_b32 exec_lo, exec_lo, s1
	v_mul_hi_u32 v1, s22, v0
	v_add_nc_u32_e32 v3, s4, v3
	s_delay_alu instid0(VALU_DEP_2) | instskip(NEXT) | instid1(VALU_DEP_1)
	v_add_nc_u32_e32 v1, v0, v1
	v_lshrrev_b32_e32 v1, s23, v1
	s_delay_alu instid0(VALU_DEP_1) | instskip(NEXT) | instid1(VALU_DEP_1)
	v_mad_u64_u32 v[11:12], null, s5, v1, v[0:1]
	v_mul_lo_u32 v1, v11, s11
	s_delay_alu instid0(VALU_DEP_1) | instskip(SKIP_1) | instid1(VALU_DEP_2)
	v_lshlrev_b64 v[11:12], 2, v[1:2]
	v_ashrrev_i32_e32 v1, 31, v0
	v_add_co_u32 v11, s0, v9, v11
	s_delay_alu instid0(VALU_DEP_1) | instskip(SKIP_3) | instid1(VALU_DEP_2)
	v_add_co_ci_u32_e64 v12, s0, v10, v12, s0
	global_load_b32 v13, v[11:12], off
	v_lshlrev_b64 v[11:12], 2, v[0:1]
	v_add_nc_u32_e32 v0, s2, v0
	v_add_co_u32 v11, s1, v7, v11
	s_delay_alu instid0(VALU_DEP_1)
	v_add_co_ci_u32_e64 v12, s1, v8, v12, s1
	s_waitcnt vmcnt(0)
	v_add_f32_e32 v1, v4, v13
	v_cmp_le_i32_e64 s0, s16, v0
	global_store_b32 v[11:12], v1, off
	s_or_b32 s3, s0, s3
	s_delay_alu instid0(SALU_CYCLE_1)
	s_and_not1_b32 exec_lo, exec_lo, s3
	s_cbranch_execz .LBB15_6
.LBB15_4:                               ; =>This Inner Loop Header: Depth=1
	v_mov_b32_e32 v4, 0
	s_and_saveexec_b32 s1, vcc_lo
	s_cbranch_execz .LBB15_3
; %bb.5:                                ;   in Loop: Header=BB15_4 Depth=1
	v_ashrrev_i32_e32 v4, 31, v3
	s_delay_alu instid0(VALU_DEP_1) | instskip(NEXT) | instid1(VALU_DEP_1)
	v_lshlrev_b64 v[11:12], 1, v[3:4]
	v_add_co_u32 v11, s0, v5, v11
	s_delay_alu instid0(VALU_DEP_1)
	v_add_co_ci_u32_e64 v12, s0, v6, v12, s0
	global_load_u16 v1, v[11:12], off
	s_waitcnt vmcnt(0)
	v_cvt_f32_f16_e32 v4, v1
	s_branch .LBB15_3
.LBB15_6:
	s_set_inst_prefetch_distance 0x2
	s_nop 0
	s_sendmsg sendmsg(MSG_DEALLOC_VGPRS)
	s_endpgm
	.section	.rodata,"a",@progbits
	.p2align	6, 0x0
	.amdhsa_kernel _ZL11k_bin_bcastIXadL_ZL6op_addffEE6__halfffJPKfEEvPKT0_PKT1_PT2_iii15HIP_vector_typeIjLj3EESC_SC_SC_SC_iiiiiiiiiiiDpT3_
		.amdhsa_group_segment_fixed_size 0
		.amdhsa_private_segment_fixed_size 0
		.amdhsa_kernarg_size 408
		.amdhsa_user_sgpr_count 13
		.amdhsa_user_sgpr_dispatch_ptr 0
		.amdhsa_user_sgpr_queue_ptr 0
		.amdhsa_user_sgpr_kernarg_segment_ptr 1
		.amdhsa_user_sgpr_dispatch_id 0
		.amdhsa_user_sgpr_private_segment_size 0
		.amdhsa_wavefront_size32 1
		.amdhsa_uses_dynamic_stack 0
		.amdhsa_enable_private_segment 0
		.amdhsa_system_sgpr_workgroup_id_x 1
		.amdhsa_system_sgpr_workgroup_id_y 1
		.amdhsa_system_sgpr_workgroup_id_z 1
		.amdhsa_system_sgpr_workgroup_info 0
		.amdhsa_system_vgpr_workitem_id 2
		.amdhsa_next_free_vgpr 15
		.amdhsa_next_free_sgpr 44
		.amdhsa_reserve_vcc 1
		.amdhsa_float_round_mode_32 0
		.amdhsa_float_round_mode_16_64 0
		.amdhsa_float_denorm_mode_32 3
		.amdhsa_float_denorm_mode_16_64 3
		.amdhsa_dx10_clamp 1
		.amdhsa_ieee_mode 1
		.amdhsa_fp16_overflow 0
		.amdhsa_workgroup_processor_mode 1
		.amdhsa_memory_ordered 1
		.amdhsa_forward_progress 0
		.amdhsa_shared_vgpr_count 0
		.amdhsa_exception_fp_ieee_invalid_op 0
		.amdhsa_exception_fp_denorm_src 0
		.amdhsa_exception_fp_ieee_div_zero 0
		.amdhsa_exception_fp_ieee_overflow 0
		.amdhsa_exception_fp_ieee_underflow 0
		.amdhsa_exception_fp_ieee_inexact 0
		.amdhsa_exception_int_div_zero 0
	.end_amdhsa_kernel
	.section	.text._ZL11k_bin_bcastIXadL_ZL6op_addffEE6__halfffJPKfEEvPKT0_PKT1_PT2_iii15HIP_vector_typeIjLj3EESC_SC_SC_SC_iiiiiiiiiiiDpT3_,"axG",@progbits,_ZL11k_bin_bcastIXadL_ZL6op_addffEE6__halfffJPKfEEvPKT0_PKT1_PT2_iii15HIP_vector_typeIjLj3EESC_SC_SC_SC_iiiiiiiiiiiDpT3_,comdat
.Lfunc_end15:
	.size	_ZL11k_bin_bcastIXadL_ZL6op_addffEE6__halfffJPKfEEvPKT0_PKT1_PT2_iii15HIP_vector_typeIjLj3EESC_SC_SC_SC_iiiiiiiiiiiDpT3_, .Lfunc_end15-_ZL11k_bin_bcastIXadL_ZL6op_addffEE6__halfffJPKfEEvPKT0_PKT1_PT2_iii15HIP_vector_typeIjLj3EESC_SC_SC_SC_iiiiiiiiiiiDpT3_
                                        ; -- End function
	.section	.AMDGPU.csdata,"",@progbits
; Kernel info:
; codeLenInByte = 880
; NumSgprs: 46
; NumVgprs: 15
; ScratchSize: 0
; MemoryBound: 0
; FloatMode: 240
; IeeeMode: 1
; LDSByteSize: 0 bytes/workgroup (compile time only)
; SGPRBlocks: 5
; VGPRBlocks: 1
; NumSGPRsForWavesPerEU: 46
; NumVGPRsForWavesPerEU: 15
; Occupancy: 16
; WaveLimiterHint : 1
; COMPUTE_PGM_RSRC2:SCRATCH_EN: 0
; COMPUTE_PGM_RSRC2:USER_SGPR: 13
; COMPUTE_PGM_RSRC2:TRAP_HANDLER: 0
; COMPUTE_PGM_RSRC2:TGID_X_EN: 1
; COMPUTE_PGM_RSRC2:TGID_Y_EN: 1
; COMPUTE_PGM_RSRC2:TGID_Z_EN: 1
; COMPUTE_PGM_RSRC2:TIDIG_COMP_CNT: 2
	.section	.text._ZL19k_bin_bcast_unravelIXadL_ZL6op_subffEEfffJPKfEEvPKT0_PKT1_PT2_15HIP_vector_typeIjLj3EESB_SB_jSB_SB_SB_SB_SB_SB_iiiiiiiiiiiDpT3_,"axG",@progbits,_ZL19k_bin_bcast_unravelIXadL_ZL6op_subffEEfffJPKfEEvPKT0_PKT1_PT2_15HIP_vector_typeIjLj3EESB_SB_jSB_SB_SB_SB_SB_SB_iiiiiiiiiiiDpT3_,comdat
	.globl	_ZL19k_bin_bcast_unravelIXadL_ZL6op_subffEEfffJPKfEEvPKT0_PKT1_PT2_15HIP_vector_typeIjLj3EESB_SB_jSB_SB_SB_SB_SB_SB_iiiiiiiiiiiDpT3_ ; -- Begin function _ZL19k_bin_bcast_unravelIXadL_ZL6op_subffEEfffJPKfEEvPKT0_PKT1_PT2_15HIP_vector_typeIjLj3EESB_SB_jSB_SB_SB_SB_SB_SB_iiiiiiiiiiiDpT3_
	.p2align	8
	.type	_ZL19k_bin_bcast_unravelIXadL_ZL6op_subffEEfffJPKfEEvPKT0_PKT1_PT2_15HIP_vector_typeIjLj3EESB_SB_jSB_SB_SB_SB_SB_SB_iiiiiiiiiiiDpT3_,@function
_ZL19k_bin_bcast_unravelIXadL_ZL6op_subffEEfffJPKfEEvPKT0_PKT1_PT2_15HIP_vector_typeIjLj3EESB_SB_jSB_SB_SB_SB_SB_SB_iiiiiiiiiiiDpT3_: ; @_ZL19k_bin_bcast_unravelIXadL_ZL6op_subffEEfffJPKfEEvPKT0_PKT1_PT2_15HIP_vector_typeIjLj3EESB_SB_jSB_SB_SB_SB_SB_SB_iiiiiiiiiiiDpT3_
; %bb.0:
	s_clause 0x1
	s_load_b32 s2, s[0:1], 0xcc
	s_load_b256 s[4:11], s[0:1], 0x38
	s_waitcnt lgkmcnt(0)
	s_and_b32 s2, s2, 0xffff
	s_delay_alu instid0(SALU_CYCLE_1) | instskip(SKIP_3) | instid1(VALU_DEP_1)
	v_mad_u64_u32 v[2:3], null, s15, s2, v[0:1]
	s_clause 0x1
	s_load_b128 s[12:15], s[0:1], 0x18
	s_load_b32 s2, s[0:1], 0x2c
	v_mul_hi_u32 v0, v2, s6
	s_delay_alu instid0(VALU_DEP_1) | instskip(NEXT) | instid1(VALU_DEP_1)
	v_add_nc_u32_e32 v0, v2, v0
	v_lshrrev_b32_e32 v1, s7, v0
	s_delay_alu instid0(VALU_DEP_1) | instskip(NEXT) | instid1(VALU_DEP_1)
	v_mul_lo_u32 v0, v1, s8
	v_sub_nc_u32_e32 v0, v2, v0
	s_delay_alu instid0(VALU_DEP_1) | instskip(NEXT) | instid1(VALU_DEP_1)
	v_mul_hi_u32 v2, v0, s9
	v_add_nc_u32_e32 v2, v0, v2
	s_delay_alu instid0(VALU_DEP_1) | instskip(NEXT) | instid1(VALU_DEP_1)
	v_lshrrev_b32_e32 v2, s10, v2
	v_mul_lo_u32 v3, v2, s11
	v_cmp_gt_u32_e64 s3, s4, v2
	v_cmp_gt_u32_e64 s4, s5, v1
	s_delay_alu instid0(VALU_DEP_3) | instskip(SKIP_1) | instid1(VALU_DEP_1)
	v_sub_nc_u32_e32 v0, v0, v3
	s_waitcnt lgkmcnt(0)
	v_mul_hi_u32 v3, v0, s12
	s_delay_alu instid0(VALU_DEP_1) | instskip(NEXT) | instid1(VALU_DEP_1)
	v_add_nc_u32_e32 v3, v0, v3
	v_lshrrev_b32_e32 v3, s13, v3
	s_delay_alu instid0(VALU_DEP_1) | instskip(SKIP_1) | instid1(VALU_DEP_2)
	v_mul_lo_u32 v4, v3, s14
	v_cmp_gt_u32_e64 s2, s2, v3
	v_sub_nc_u32_e32 v0, v0, v4
	s_delay_alu instid0(VALU_DEP_1) | instskip(NEXT) | instid1(VALU_DEP_3)
	v_cmp_gt_u32_e32 vcc_lo, s14, v0
	s_and_b32 s2, vcc_lo, s2
	s_delay_alu instid0(SALU_CYCLE_1) | instskip(NEXT) | instid1(SALU_CYCLE_1)
	s_and_b32 s2, s2, s3
	s_and_b32 s2, s4, s2
	s_delay_alu instid0(SALU_CYCLE_1)
	s_and_saveexec_b32 s3, s2
	s_cbranch_execz .LBB16_5
; %bb.1:
	s_clause 0x4
	s_load_b64 s[2:3], s[0:1], 0x0
	s_load_b128 s[20:23], s[0:1], 0xa8
	s_load_b256 s[4:11], s[0:1], 0x88
	s_load_b128 s[24:27], s[0:1], 0x78
	s_load_b256 s[12:19], s[0:1], 0x58
	s_waitcnt lgkmcnt(0)
	s_cmp_eq_u64 s[2:3], 0
	s_cbranch_scc1 .LBB16_3
; %bb.2:
	v_mul_lo_u32 v4, v1, s10
	v_mul_lo_u32 v6, v2, s9
	;; [unrolled: 1-line block ×3, first 2 shown]
	v_mov_b32_e32 v5, 0
	s_delay_alu instid0(VALU_DEP_2) | instskip(NEXT) | instid1(VALU_DEP_1)
	v_add3_u32 v4, v6, v4, v7
	v_lshlrev_b64 v[6:7], 2, v[4:5]
	v_mul_lo_u32 v4, v0, s7
	s_delay_alu instid0(VALU_DEP_2) | instskip(NEXT) | instid1(VALU_DEP_3)
	v_add_co_u32 v6, vcc_lo, s2, v6
	v_add_co_ci_u32_e32 v7, vcc_lo, s3, v7, vcc_lo
	s_delay_alu instid0(VALU_DEP_3) | instskip(NEXT) | instid1(VALU_DEP_1)
	v_lshlrev_b64 v[4:5], 2, v[4:5]
	v_add_co_u32 v4, vcc_lo, v6, v4
	s_delay_alu instid0(VALU_DEP_2)
	v_add_co_ci_u32_e32 v5, vcc_lo, v7, v5, vcc_lo
	global_load_b32 v4, v[4:5], off
	s_branch .LBB16_4
.LBB16_3:
	v_mov_b32_e32 v4, 0
.LBB16_4:
	v_mul_hi_u32 v5, s25, v1
	v_mul_hi_u32 v6, s18, v2
	;; [unrolled: 1-line block ×4, first 2 shown]
	s_clause 0x1
	s_load_b64 s[2:3], s[0:1], 0xb8
	s_load_b64 s[0:1], s[0:1], 0x10
	s_delay_alu instid0(VALU_DEP_4) | instskip(NEXT) | instid1(VALU_DEP_4)
	v_add_nc_u32_e32 v5, v1, v5
	v_add_nc_u32_e32 v6, v2, v6
	s_delay_alu instid0(VALU_DEP_4) | instskip(NEXT) | instid1(VALU_DEP_4)
	v_add_nc_u32_e32 v7, v3, v7
	v_add_nc_u32_e32 v8, v0, v8
	s_delay_alu instid0(VALU_DEP_4) | instskip(NEXT) | instid1(VALU_DEP_4)
	v_lshrrev_b32_e32 v5, s26, v5
	v_lshrrev_b32_e32 v6, s19, v6
	s_delay_alu instid0(VALU_DEP_4) | instskip(NEXT) | instid1(VALU_DEP_4)
	v_lshrrev_b32_e32 v7, s16, v7
	v_lshrrev_b32_e32 v8, s13, v8
	s_delay_alu instid0(VALU_DEP_4) | instskip(NEXT) | instid1(VALU_DEP_4)
	v_mul_lo_u32 v5, v5, s27
	v_mul_lo_u32 v6, v6, s24
	s_delay_alu instid0(VALU_DEP_4) | instskip(NEXT) | instid1(VALU_DEP_4)
	v_mul_lo_u32 v7, v7, s17
	v_mul_lo_u32 v8, v8, s14
	s_delay_alu instid0(VALU_DEP_4) | instskip(NEXT) | instid1(VALU_DEP_4)
	v_sub_nc_u32_e32 v5, v1, v5
	v_sub_nc_u32_e32 v6, v2, v6
	s_delay_alu instid0(VALU_DEP_4) | instskip(NEXT) | instid1(VALU_DEP_4)
	v_sub_nc_u32_e32 v7, v3, v7
	v_sub_nc_u32_e32 v8, v0, v8
	v_mul_lo_u32 v1, v1, s6
	v_mul_lo_u32 v5, v5, s22
	;; [unrolled: 1-line block ×5, first 2 shown]
	s_delay_alu instid0(VALU_DEP_2) | instskip(SKIP_1) | instid1(VALU_DEP_2)
	v_add3_u32 v5, v6, v5, v7
	v_mul_lo_u32 v7, v8, s11
	v_ashrrev_i32_e32 v6, 31, v5
	s_delay_alu instid0(VALU_DEP_2) | instskip(NEXT) | instid1(VALU_DEP_2)
	v_ashrrev_i32_e32 v8, 31, v7
	v_lshlrev_b64 v[5:6], 2, v[5:6]
	s_delay_alu instid0(VALU_DEP_2) | instskip(SKIP_1) | instid1(VALU_DEP_2)
	v_lshlrev_b64 v[7:8], 2, v[7:8]
	s_waitcnt lgkmcnt(0)
	v_add_co_u32 v5, vcc_lo, s2, v5
	s_delay_alu instid0(VALU_DEP_3) | instskip(NEXT) | instid1(VALU_DEP_2)
	v_add_co_ci_u32_e32 v6, vcc_lo, s3, v6, vcc_lo
	v_add_co_u32 v5, vcc_lo, v5, v7
	s_delay_alu instid0(VALU_DEP_2) | instskip(SKIP_3) | instid1(VALU_DEP_2)
	v_add_co_ci_u32_e32 v6, vcc_lo, v6, v8, vcc_lo
	global_load_b32 v5, v[5:6], off
	v_mul_lo_u32 v6, v3, s4
	v_mov_b32_e32 v3, 0
	v_add3_u32 v2, v2, v1, v6
	s_delay_alu instid0(VALU_DEP_2) | instskip(NEXT) | instid1(VALU_DEP_2)
	v_mov_b32_e32 v1, v3
	v_lshlrev_b64 v[2:3], 2, v[2:3]
	s_delay_alu instid0(VALU_DEP_2) | instskip(NEXT) | instid1(VALU_DEP_2)
	v_lshlrev_b64 v[0:1], 2, v[0:1]
	v_add_co_u32 v2, vcc_lo, s0, v2
	s_delay_alu instid0(VALU_DEP_3) | instskip(NEXT) | instid1(VALU_DEP_2)
	v_add_co_ci_u32_e32 v3, vcc_lo, s1, v3, vcc_lo
	v_add_co_u32 v0, vcc_lo, v2, v0
	s_delay_alu instid0(VALU_DEP_2)
	v_add_co_ci_u32_e32 v1, vcc_lo, v3, v1, vcc_lo
	s_waitcnt vmcnt(0)
	v_sub_f32_e32 v4, v4, v5
	global_store_b32 v[0:1], v4, off
.LBB16_5:
	s_nop 0
	s_sendmsg sendmsg(MSG_DEALLOC_VGPRS)
	s_endpgm
	.section	.rodata,"a",@progbits
	.p2align	6, 0x0
	.amdhsa_kernel _ZL19k_bin_bcast_unravelIXadL_ZL6op_subffEEfffJPKfEEvPKT0_PKT1_PT2_15HIP_vector_typeIjLj3EESB_SB_jSB_SB_SB_SB_SB_SB_iiiiiiiiiiiDpT3_
		.amdhsa_group_segment_fixed_size 0
		.amdhsa_private_segment_fixed_size 0
		.amdhsa_kernarg_size 448
		.amdhsa_user_sgpr_count 15
		.amdhsa_user_sgpr_dispatch_ptr 0
		.amdhsa_user_sgpr_queue_ptr 0
		.amdhsa_user_sgpr_kernarg_segment_ptr 1
		.amdhsa_user_sgpr_dispatch_id 0
		.amdhsa_user_sgpr_private_segment_size 0
		.amdhsa_wavefront_size32 1
		.amdhsa_uses_dynamic_stack 0
		.amdhsa_enable_private_segment 0
		.amdhsa_system_sgpr_workgroup_id_x 1
		.amdhsa_system_sgpr_workgroup_id_y 0
		.amdhsa_system_sgpr_workgroup_id_z 0
		.amdhsa_system_sgpr_workgroup_info 0
		.amdhsa_system_vgpr_workitem_id 0
		.amdhsa_next_free_vgpr 9
		.amdhsa_next_free_sgpr 28
		.amdhsa_reserve_vcc 1
		.amdhsa_float_round_mode_32 0
		.amdhsa_float_round_mode_16_64 0
		.amdhsa_float_denorm_mode_32 3
		.amdhsa_float_denorm_mode_16_64 3
		.amdhsa_dx10_clamp 1
		.amdhsa_ieee_mode 1
		.amdhsa_fp16_overflow 0
		.amdhsa_workgroup_processor_mode 1
		.amdhsa_memory_ordered 1
		.amdhsa_forward_progress 0
		.amdhsa_shared_vgpr_count 0
		.amdhsa_exception_fp_ieee_invalid_op 0
		.amdhsa_exception_fp_denorm_src 0
		.amdhsa_exception_fp_ieee_div_zero 0
		.amdhsa_exception_fp_ieee_overflow 0
		.amdhsa_exception_fp_ieee_underflow 0
		.amdhsa_exception_fp_ieee_inexact 0
		.amdhsa_exception_int_div_zero 0
	.end_amdhsa_kernel
	.section	.text._ZL19k_bin_bcast_unravelIXadL_ZL6op_subffEEfffJPKfEEvPKT0_PKT1_PT2_15HIP_vector_typeIjLj3EESB_SB_jSB_SB_SB_SB_SB_SB_iiiiiiiiiiiDpT3_,"axG",@progbits,_ZL19k_bin_bcast_unravelIXadL_ZL6op_subffEEfffJPKfEEvPKT0_PKT1_PT2_15HIP_vector_typeIjLj3EESB_SB_jSB_SB_SB_SB_SB_SB_iiiiiiiiiiiDpT3_,comdat
.Lfunc_end16:
	.size	_ZL19k_bin_bcast_unravelIXadL_ZL6op_subffEEfffJPKfEEvPKT0_PKT1_PT2_15HIP_vector_typeIjLj3EESB_SB_jSB_SB_SB_SB_SB_SB_iiiiiiiiiiiDpT3_, .Lfunc_end16-_ZL19k_bin_bcast_unravelIXadL_ZL6op_subffEEfffJPKfEEvPKT0_PKT1_PT2_15HIP_vector_typeIjLj3EESB_SB_jSB_SB_SB_SB_SB_SB_iiiiiiiiiiiDpT3_
                                        ; -- End function
	.section	.AMDGPU.csdata,"",@progbits
; Kernel info:
; codeLenInByte = 820
; NumSgprs: 30
; NumVgprs: 9
; ScratchSize: 0
; MemoryBound: 0
; FloatMode: 240
; IeeeMode: 1
; LDSByteSize: 0 bytes/workgroup (compile time only)
; SGPRBlocks: 3
; VGPRBlocks: 1
; NumSGPRsForWavesPerEU: 30
; NumVGPRsForWavesPerEU: 9
; Occupancy: 16
; WaveLimiterHint : 1
; COMPUTE_PGM_RSRC2:SCRATCH_EN: 0
; COMPUTE_PGM_RSRC2:USER_SGPR: 15
; COMPUTE_PGM_RSRC2:TRAP_HANDLER: 0
; COMPUTE_PGM_RSRC2:TGID_X_EN: 1
; COMPUTE_PGM_RSRC2:TGID_Y_EN: 0
; COMPUTE_PGM_RSRC2:TGID_Z_EN: 0
; COMPUTE_PGM_RSRC2:TIDIG_COMP_CNT: 0
	.section	.text._ZL11k_bin_bcastIXadL_ZL6op_subffEEfffJPKfEEvPKT0_PKT1_PT2_iii15HIP_vector_typeIjLj3EESB_SB_SB_SB_iiiiiiiiiiiDpT3_,"axG",@progbits,_ZL11k_bin_bcastIXadL_ZL6op_subffEEfffJPKfEEvPKT0_PKT1_PT2_iii15HIP_vector_typeIjLj3EESB_SB_SB_SB_iiiiiiiiiiiDpT3_,comdat
	.globl	_ZL11k_bin_bcastIXadL_ZL6op_subffEEfffJPKfEEvPKT0_PKT1_PT2_iii15HIP_vector_typeIjLj3EESB_SB_SB_SB_iiiiiiiiiiiDpT3_ ; -- Begin function _ZL11k_bin_bcastIXadL_ZL6op_subffEEfffJPKfEEvPKT0_PKT1_PT2_iii15HIP_vector_typeIjLj3EESB_SB_SB_SB_iiiiiiiiiiiDpT3_
	.p2align	8
	.type	_ZL11k_bin_bcastIXadL_ZL6op_subffEEfffJPKfEEvPKT0_PKT1_PT2_iii15HIP_vector_typeIjLj3EESB_SB_SB_SB_iiiiiiiiiiiDpT3_,@function
_ZL11k_bin_bcastIXadL_ZL6op_subffEEfffJPKfEEvPKT0_PKT1_PT2_iii15HIP_vector_typeIjLj3EESB_SB_SB_SB_iiiiiiiiiiiDpT3_: ; @_ZL11k_bin_bcastIXadL_ZL6op_subffEEfffJPKfEEvPKT0_PKT1_PT2_iii15HIP_vector_typeIjLj3EESB_SB_SB_SB_iiiiiiiiiiiDpT3_
; %bb.0:
	s_clause 0x1
	s_load_b64 s[2:3], s[0:1], 0xa4
	s_load_b256 s[16:23], s[0:1], 0x18
	v_bfe_u32 v1, v0, 20, 10
	s_add_u32 s24, s0, 0x98
	s_addc_u32 s25, s1, 0
	v_bfe_u32 v6, v0, 10, 10
	s_waitcnt lgkmcnt(0)
	s_and_b32 s3, s3, 0xffff
	s_and_b32 s12, s2, 0xffff
	v_mad_u64_u32 v[2:3], null, s15, s3, v[1:2]
	v_and_b32_e32 v3, 0x3ff, v0
	s_lshr_b32 s3, s2, 16
	s_delay_alu instid0(VALU_DEP_2) | instskip(NEXT) | instid1(VALU_DEP_1)
	v_mul_hi_u32 v1, v2, s19
	v_add_nc_u32_e32 v1, v2, v1
	s_delay_alu instid0(VALU_DEP_1) | instskip(SKIP_2) | instid1(VALU_DEP_3)
	v_lshrrev_b32_e32 v5, s20, v1
	v_mad_u64_u32 v[0:1], null, s13, s12, v[3:4]
	v_mad_u64_u32 v[3:4], null, s14, s3, v[6:7]
	v_mul_lo_u32 v1, v5, s21
	v_cmp_gt_u32_e64 s3, s18, v5
	s_delay_alu instid0(VALU_DEP_4) | instskip(NEXT) | instid1(VALU_DEP_4)
	v_cmp_gt_u32_e32 vcc_lo, s16, v0
	v_cmp_gt_u32_e64 s2, s17, v3
	s_delay_alu instid0(VALU_DEP_4) | instskip(NEXT) | instid1(VALU_DEP_2)
	v_sub_nc_u32_e32 v4, v2, v1
	s_and_b32 s2, vcc_lo, s2
	s_delay_alu instid0(SALU_CYCLE_1) | instskip(NEXT) | instid1(VALU_DEP_1)
	s_and_b32 s2, s2, s3
	v_cmp_gt_u32_e64 s4, s21, v4
	s_delay_alu instid0(VALU_DEP_1) | instskip(NEXT) | instid1(SALU_CYCLE_1)
	s_and_b32 s2, s2, s4
	s_and_saveexec_b32 s3, s2
	s_cbranch_execz .LBB17_6
; %bb.1:
	v_cmp_gt_i32_e32 vcc_lo, s16, v0
	s_and_b32 exec_lo, exec_lo, vcc_lo
	s_cbranch_execz .LBB17_6
; %bb.2:
	s_clause 0x2
	s_load_b256 s[36:43], s[0:1], 0x3c
	s_load_b256 s[4:11], s[0:1], 0x60
	s_load_b32 s13, s[0:1], 0x5c
	s_load_b32 s17, s[24:25], 0x0
	s_clause 0x4
	s_load_b128 s[24:27], s[0:1], 0x80
	s_load_b64 s[2:3], s[0:1], 0x0
	s_load_b32 s18, s[0:1], 0x38
	s_load_b64 s[14:15], s[0:1], 0x10
	s_load_b64 s[0:1], s[0:1], 0x90
	s_waitcnt lgkmcnt(0)
	v_mul_hi_u32 v1, s39, v5
	v_mov_b32_e32 v2, 0
	v_mul_hi_u32 v6, s42, v4
	v_mul_hi_u32 v7, s36, v3
	v_mul_lo_u32 v8, v4, s10
	v_mul_lo_u32 v9, v5, s9
	;; [unrolled: 1-line block ×4, first 2 shown]
	v_add_nc_u32_e32 v1, v5, v1
	v_mul_lo_u32 v12, v4, s6
	v_add_nc_u32_e32 v6, v4, v6
	v_add_nc_u32_e32 v7, v3, v7
	v_mul_lo_u32 v14, v3, s4
	v_lshrrev_b32_e32 v1, s40, v1
	s_cmp_lg_u64 s[2:3], 0
	s_delay_alu instid0(VALU_DEP_3) | instskip(NEXT) | instid1(VALU_DEP_2)
	v_lshrrev_b32_e32 v7, s37, v7
	v_mul_lo_u32 v11, v1, s41
	v_add3_u32 v1, v9, v10, v8
	s_delay_alu instid0(VALU_DEP_3) | instskip(NEXT) | instid1(VALU_DEP_3)
	v_mul_lo_u32 v7, v7, s38
	v_sub_nc_u32_e32 v8, v5, v11
	v_mov_b32_e32 v5, v2
	v_lshrrev_b32_e32 v6, s43, v6
	s_delay_alu instid0(VALU_DEP_4) | instskip(NEXT) | instid1(VALU_DEP_2)
	v_sub_nc_u32_e32 v3, v3, v7
	v_mul_lo_u32 v6, v6, s13
	s_delay_alu instid0(VALU_DEP_2) | instskip(SKIP_1) | instid1(VALU_DEP_3)
	v_mul_lo_u32 v9, v3, s24
	v_mul_lo_u32 v3, s7, v0
	v_sub_nc_u32_e32 v4, v4, v6
	v_lshlrev_b64 v[6:7], 2, v[1:2]
	v_mul_lo_u32 v1, v8, s25
	s_delay_alu instid0(VALU_DEP_3) | instskip(SKIP_1) | instid1(VALU_DEP_4)
	v_mul_lo_u32 v8, v4, s26
	v_add3_u32 v4, v13, v14, v12
	v_add_co_u32 v10, vcc_lo, s2, v6
	v_add_co_ci_u32_e32 v6, vcc_lo, s3, v7, vcc_lo
	s_cselect_b32 vcc_lo, -1, 0
	s_mul_i32 s2, s17, s12
	s_delay_alu instid0(VALU_DEP_4) | instskip(NEXT) | instid1(VALU_DEP_2)
	v_add3_u32 v1, v1, v8, v9
	v_cndmask_b32_e32 v6, 0, v6, vcc_lo
	v_lshlrev_b64 v[7:8], 2, v[4:5]
	v_cndmask_b32_e32 v5, 0, v10, vcc_lo
	s_mov_b32 s3, 0
	v_lshlrev_b64 v[9:10], 2, v[1:2]
	s_mul_i32 s4, s2, s7
	s_sub_i32 s5, 0, s18
	v_add_co_u32 v7, vcc_lo, s14, v7
	v_add_co_ci_u32_e32 v8, vcc_lo, s15, v8, vcc_lo
	s_delay_alu instid0(VALU_DEP_3)
	v_add_co_u32 v9, s0, s0, v9
	v_cmp_ne_u64_e32 vcc_lo, 0, v[5:6]
	v_add_co_ci_u32_e64 v10, s0, s1, v10, s0
	s_set_inst_prefetch_distance 0x1
	s_branch .LBB17_4
	.p2align	6
.LBB17_3:                               ;   in Loop: Header=BB17_4 Depth=1
	s_or_b32 exec_lo, exec_lo, s1
	v_mul_hi_u32 v1, s22, v0
	v_add_nc_u32_e32 v3, s4, v3
	s_delay_alu instid0(VALU_DEP_2) | instskip(NEXT) | instid1(VALU_DEP_1)
	v_add_nc_u32_e32 v1, v0, v1
	v_lshrrev_b32_e32 v1, s23, v1
	s_delay_alu instid0(VALU_DEP_1) | instskip(NEXT) | instid1(VALU_DEP_1)
	v_mad_u64_u32 v[11:12], null, s5, v1, v[0:1]
	v_mul_lo_u32 v1, v11, s11
	s_delay_alu instid0(VALU_DEP_1) | instskip(SKIP_1) | instid1(VALU_DEP_2)
	v_lshlrev_b64 v[11:12], 2, v[1:2]
	v_ashrrev_i32_e32 v1, 31, v0
	v_add_co_u32 v11, s0, v9, v11
	s_delay_alu instid0(VALU_DEP_1) | instskip(SKIP_3) | instid1(VALU_DEP_2)
	v_add_co_ci_u32_e64 v12, s0, v10, v12, s0
	global_load_b32 v13, v[11:12], off
	v_lshlrev_b64 v[11:12], 2, v[0:1]
	v_add_nc_u32_e32 v0, s2, v0
	v_add_co_u32 v11, s1, v7, v11
	s_delay_alu instid0(VALU_DEP_1)
	v_add_co_ci_u32_e64 v12, s1, v8, v12, s1
	s_waitcnt vmcnt(0)
	v_sub_f32_e32 v1, v4, v13
	v_cmp_le_i32_e64 s0, s16, v0
	global_store_b32 v[11:12], v1, off
	s_or_b32 s3, s0, s3
	s_delay_alu instid0(SALU_CYCLE_1)
	s_and_not1_b32 exec_lo, exec_lo, s3
	s_cbranch_execz .LBB17_6
.LBB17_4:                               ; =>This Inner Loop Header: Depth=1
	v_mov_b32_e32 v4, 0
	s_and_saveexec_b32 s1, vcc_lo
	s_cbranch_execz .LBB17_3
; %bb.5:                                ;   in Loop: Header=BB17_4 Depth=1
	v_ashrrev_i32_e32 v4, 31, v3
	s_delay_alu instid0(VALU_DEP_1) | instskip(NEXT) | instid1(VALU_DEP_1)
	v_lshlrev_b64 v[11:12], 2, v[3:4]
	v_add_co_u32 v11, s0, v5, v11
	s_delay_alu instid0(VALU_DEP_1)
	v_add_co_ci_u32_e64 v12, s0, v6, v12, s0
	global_load_b32 v4, v[11:12], off
	s_branch .LBB17_3
.LBB17_6:
	s_set_inst_prefetch_distance 0x2
	s_nop 0
	s_sendmsg sendmsg(MSG_DEALLOC_VGPRS)
	s_endpgm
	.section	.rodata,"a",@progbits
	.p2align	6, 0x0
	.amdhsa_kernel _ZL11k_bin_bcastIXadL_ZL6op_subffEEfffJPKfEEvPKT0_PKT1_PT2_iii15HIP_vector_typeIjLj3EESB_SB_SB_SB_iiiiiiiiiiiDpT3_
		.amdhsa_group_segment_fixed_size 0
		.amdhsa_private_segment_fixed_size 0
		.amdhsa_kernarg_size 408
		.amdhsa_user_sgpr_count 13
		.amdhsa_user_sgpr_dispatch_ptr 0
		.amdhsa_user_sgpr_queue_ptr 0
		.amdhsa_user_sgpr_kernarg_segment_ptr 1
		.amdhsa_user_sgpr_dispatch_id 0
		.amdhsa_user_sgpr_private_segment_size 0
		.amdhsa_wavefront_size32 1
		.amdhsa_uses_dynamic_stack 0
		.amdhsa_enable_private_segment 0
		.amdhsa_system_sgpr_workgroup_id_x 1
		.amdhsa_system_sgpr_workgroup_id_y 1
		.amdhsa_system_sgpr_workgroup_id_z 1
		.amdhsa_system_sgpr_workgroup_info 0
		.amdhsa_system_vgpr_workitem_id 2
		.amdhsa_next_free_vgpr 15
		.amdhsa_next_free_sgpr 44
		.amdhsa_reserve_vcc 1
		.amdhsa_float_round_mode_32 0
		.amdhsa_float_round_mode_16_64 0
		.amdhsa_float_denorm_mode_32 3
		.amdhsa_float_denorm_mode_16_64 3
		.amdhsa_dx10_clamp 1
		.amdhsa_ieee_mode 1
		.amdhsa_fp16_overflow 0
		.amdhsa_workgroup_processor_mode 1
		.amdhsa_memory_ordered 1
		.amdhsa_forward_progress 0
		.amdhsa_shared_vgpr_count 0
		.amdhsa_exception_fp_ieee_invalid_op 0
		.amdhsa_exception_fp_denorm_src 0
		.amdhsa_exception_fp_ieee_div_zero 0
		.amdhsa_exception_fp_ieee_overflow 0
		.amdhsa_exception_fp_ieee_underflow 0
		.amdhsa_exception_fp_ieee_inexact 0
		.amdhsa_exception_int_div_zero 0
	.end_amdhsa_kernel
	.section	.text._ZL11k_bin_bcastIXadL_ZL6op_subffEEfffJPKfEEvPKT0_PKT1_PT2_iii15HIP_vector_typeIjLj3EESB_SB_SB_SB_iiiiiiiiiiiDpT3_,"axG",@progbits,_ZL11k_bin_bcastIXadL_ZL6op_subffEEfffJPKfEEvPKT0_PKT1_PT2_iii15HIP_vector_typeIjLj3EESB_SB_SB_SB_iiiiiiiiiiiDpT3_,comdat
.Lfunc_end17:
	.size	_ZL11k_bin_bcastIXadL_ZL6op_subffEEfffJPKfEEvPKT0_PKT1_PT2_iii15HIP_vector_typeIjLj3EESB_SB_SB_SB_iiiiiiiiiiiDpT3_, .Lfunc_end17-_ZL11k_bin_bcastIXadL_ZL6op_subffEEfffJPKfEEvPKT0_PKT1_PT2_iii15HIP_vector_typeIjLj3EESB_SB_SB_SB_iiiiiiiiiiiDpT3_
                                        ; -- End function
	.section	.AMDGPU.csdata,"",@progbits
; Kernel info:
; codeLenInByte = 872
; NumSgprs: 46
; NumVgprs: 15
; ScratchSize: 0
; MemoryBound: 0
; FloatMode: 240
; IeeeMode: 1
; LDSByteSize: 0 bytes/workgroup (compile time only)
; SGPRBlocks: 5
; VGPRBlocks: 1
; NumSGPRsForWavesPerEU: 46
; NumVGPRsForWavesPerEU: 15
; Occupancy: 16
; WaveLimiterHint : 1
; COMPUTE_PGM_RSRC2:SCRATCH_EN: 0
; COMPUTE_PGM_RSRC2:USER_SGPR: 13
; COMPUTE_PGM_RSRC2:TRAP_HANDLER: 0
; COMPUTE_PGM_RSRC2:TGID_X_EN: 1
; COMPUTE_PGM_RSRC2:TGID_Y_EN: 1
; COMPUTE_PGM_RSRC2:TGID_Z_EN: 1
; COMPUTE_PGM_RSRC2:TIDIG_COMP_CNT: 2
	.section	.text._ZL19k_bin_bcast_unravelIXadL_ZL6op_subffEE6__halfS0_S0_JPKS0_EEvPKT0_PKT1_PT2_15HIP_vector_typeIjLj3EESC_SC_jSC_SC_SC_SC_SC_SC_iiiiiiiiiiiDpT3_,"axG",@progbits,_ZL19k_bin_bcast_unravelIXadL_ZL6op_subffEE6__halfS0_S0_JPKS0_EEvPKT0_PKT1_PT2_15HIP_vector_typeIjLj3EESC_SC_jSC_SC_SC_SC_SC_SC_iiiiiiiiiiiDpT3_,comdat
	.globl	_ZL19k_bin_bcast_unravelIXadL_ZL6op_subffEE6__halfS0_S0_JPKS0_EEvPKT0_PKT1_PT2_15HIP_vector_typeIjLj3EESC_SC_jSC_SC_SC_SC_SC_SC_iiiiiiiiiiiDpT3_ ; -- Begin function _ZL19k_bin_bcast_unravelIXadL_ZL6op_subffEE6__halfS0_S0_JPKS0_EEvPKT0_PKT1_PT2_15HIP_vector_typeIjLj3EESC_SC_jSC_SC_SC_SC_SC_SC_iiiiiiiiiiiDpT3_
	.p2align	8
	.type	_ZL19k_bin_bcast_unravelIXadL_ZL6op_subffEE6__halfS0_S0_JPKS0_EEvPKT0_PKT1_PT2_15HIP_vector_typeIjLj3EESC_SC_jSC_SC_SC_SC_SC_SC_iiiiiiiiiiiDpT3_,@function
_ZL19k_bin_bcast_unravelIXadL_ZL6op_subffEE6__halfS0_S0_JPKS0_EEvPKT0_PKT1_PT2_15HIP_vector_typeIjLj3EESC_SC_jSC_SC_SC_SC_SC_SC_iiiiiiiiiiiDpT3_: ; @_ZL19k_bin_bcast_unravelIXadL_ZL6op_subffEE6__halfS0_S0_JPKS0_EEvPKT0_PKT1_PT2_15HIP_vector_typeIjLj3EESC_SC_jSC_SC_SC_SC_SC_SC_iiiiiiiiiiiDpT3_
; %bb.0:
	s_clause 0x1
	s_load_b32 s2, s[0:1], 0xcc
	s_load_b256 s[4:11], s[0:1], 0x38
	s_waitcnt lgkmcnt(0)
	s_and_b32 s2, s2, 0xffff
	s_delay_alu instid0(SALU_CYCLE_1) | instskip(SKIP_3) | instid1(VALU_DEP_1)
	v_mad_u64_u32 v[2:3], null, s15, s2, v[0:1]
	s_clause 0x1
	s_load_b128 s[12:15], s[0:1], 0x18
	s_load_b32 s2, s[0:1], 0x2c
	v_mul_hi_u32 v0, v2, s6
	s_delay_alu instid0(VALU_DEP_1) | instskip(NEXT) | instid1(VALU_DEP_1)
	v_add_nc_u32_e32 v0, v2, v0
	v_lshrrev_b32_e32 v1, s7, v0
	s_delay_alu instid0(VALU_DEP_1) | instskip(NEXT) | instid1(VALU_DEP_1)
	v_mul_lo_u32 v0, v1, s8
	v_sub_nc_u32_e32 v0, v2, v0
	s_delay_alu instid0(VALU_DEP_1) | instskip(NEXT) | instid1(VALU_DEP_1)
	v_mul_hi_u32 v2, v0, s9
	v_add_nc_u32_e32 v2, v0, v2
	s_delay_alu instid0(VALU_DEP_1) | instskip(NEXT) | instid1(VALU_DEP_1)
	v_lshrrev_b32_e32 v2, s10, v2
	v_mul_lo_u32 v3, v2, s11
	v_cmp_gt_u32_e64 s3, s4, v2
	v_cmp_gt_u32_e64 s4, s5, v1
	s_delay_alu instid0(VALU_DEP_3) | instskip(SKIP_1) | instid1(VALU_DEP_1)
	v_sub_nc_u32_e32 v0, v0, v3
	s_waitcnt lgkmcnt(0)
	v_mul_hi_u32 v3, v0, s12
	s_delay_alu instid0(VALU_DEP_1) | instskip(NEXT) | instid1(VALU_DEP_1)
	v_add_nc_u32_e32 v3, v0, v3
	v_lshrrev_b32_e32 v3, s13, v3
	s_delay_alu instid0(VALU_DEP_1) | instskip(SKIP_1) | instid1(VALU_DEP_2)
	v_mul_lo_u32 v4, v3, s14
	v_cmp_gt_u32_e64 s2, s2, v3
	v_sub_nc_u32_e32 v0, v0, v4
	s_delay_alu instid0(VALU_DEP_1) | instskip(NEXT) | instid1(VALU_DEP_3)
	v_cmp_gt_u32_e32 vcc_lo, s14, v0
	s_and_b32 s2, vcc_lo, s2
	s_delay_alu instid0(SALU_CYCLE_1) | instskip(NEXT) | instid1(SALU_CYCLE_1)
	s_and_b32 s2, s2, s3
	s_and_b32 s2, s4, s2
	s_delay_alu instid0(SALU_CYCLE_1)
	s_and_saveexec_b32 s3, s2
	s_cbranch_execz .LBB18_5
; %bb.1:
	s_clause 0x4
	s_load_b64 s[2:3], s[0:1], 0x0
	s_load_b128 s[20:23], s[0:1], 0xa8
	s_load_b256 s[4:11], s[0:1], 0x88
	s_load_b128 s[24:27], s[0:1], 0x78
	s_load_b256 s[12:19], s[0:1], 0x58
	s_waitcnt lgkmcnt(0)
	s_cmp_eq_u64 s[2:3], 0
	s_cbranch_scc1 .LBB18_3
; %bb.2:
	v_mul_lo_u32 v4, v1, s10
	v_mul_lo_u32 v6, v2, s9
	;; [unrolled: 1-line block ×3, first 2 shown]
	v_mov_b32_e32 v5, 0
	s_delay_alu instid0(VALU_DEP_2) | instskip(NEXT) | instid1(VALU_DEP_1)
	v_add3_u32 v4, v6, v4, v7
	v_lshlrev_b64 v[6:7], 1, v[4:5]
	v_mul_lo_u32 v4, v0, s7
	s_delay_alu instid0(VALU_DEP_2) | instskip(NEXT) | instid1(VALU_DEP_3)
	v_add_co_u32 v6, vcc_lo, s2, v6
	v_add_co_ci_u32_e32 v7, vcc_lo, s3, v7, vcc_lo
	s_delay_alu instid0(VALU_DEP_3) | instskip(NEXT) | instid1(VALU_DEP_1)
	v_lshlrev_b64 v[4:5], 1, v[4:5]
	v_add_co_u32 v4, vcc_lo, v6, v4
	s_delay_alu instid0(VALU_DEP_2)
	v_add_co_ci_u32_e32 v5, vcc_lo, v7, v5, vcc_lo
	global_load_u16 v4, v[4:5], off
	s_waitcnt vmcnt(0)
	v_cvt_f32_f16_e32 v4, v4
	s_branch .LBB18_4
.LBB18_3:
	v_mov_b32_e32 v4, 0
.LBB18_4:
	v_mul_hi_u32 v5, s25, v1
	v_mul_hi_u32 v6, s18, v2
	v_mul_hi_u32 v7, s15, v3
	v_mul_hi_u32 v8, s12, v0
	s_clause 0x1
	s_load_b64 s[2:3], s[0:1], 0xb8
	s_load_b64 s[0:1], s[0:1], 0x10
	s_delay_alu instid0(VALU_DEP_4) | instskip(NEXT) | instid1(VALU_DEP_4)
	v_add_nc_u32_e32 v5, v1, v5
	v_add_nc_u32_e32 v6, v2, v6
	s_delay_alu instid0(VALU_DEP_4) | instskip(NEXT) | instid1(VALU_DEP_4)
	v_add_nc_u32_e32 v7, v3, v7
	v_add_nc_u32_e32 v8, v0, v8
	s_delay_alu instid0(VALU_DEP_4) | instskip(NEXT) | instid1(VALU_DEP_4)
	v_lshrrev_b32_e32 v5, s26, v5
	v_lshrrev_b32_e32 v6, s19, v6
	s_delay_alu instid0(VALU_DEP_4) | instskip(NEXT) | instid1(VALU_DEP_4)
	v_lshrrev_b32_e32 v7, s16, v7
	v_lshrrev_b32_e32 v8, s13, v8
	s_delay_alu instid0(VALU_DEP_4) | instskip(NEXT) | instid1(VALU_DEP_4)
	v_mul_lo_u32 v5, v5, s27
	v_mul_lo_u32 v6, v6, s24
	s_delay_alu instid0(VALU_DEP_4) | instskip(NEXT) | instid1(VALU_DEP_4)
	v_mul_lo_u32 v7, v7, s17
	v_mul_lo_u32 v8, v8, s14
	s_delay_alu instid0(VALU_DEP_4) | instskip(NEXT) | instid1(VALU_DEP_4)
	v_sub_nc_u32_e32 v5, v1, v5
	v_sub_nc_u32_e32 v6, v2, v6
	s_delay_alu instid0(VALU_DEP_4) | instskip(NEXT) | instid1(VALU_DEP_4)
	v_sub_nc_u32_e32 v7, v3, v7
	v_sub_nc_u32_e32 v8, v0, v8
	v_mul_lo_u32 v1, v1, s6
	v_mul_lo_u32 v5, v5, s22
	;; [unrolled: 1-line block ×5, first 2 shown]
	s_delay_alu instid0(VALU_DEP_2) | instskip(SKIP_1) | instid1(VALU_DEP_2)
	v_add3_u32 v5, v6, v5, v7
	v_mul_lo_u32 v7, v8, s11
	v_ashrrev_i32_e32 v6, 31, v5
	s_delay_alu instid0(VALU_DEP_2) | instskip(NEXT) | instid1(VALU_DEP_2)
	v_ashrrev_i32_e32 v8, 31, v7
	v_lshlrev_b64 v[5:6], 1, v[5:6]
	s_delay_alu instid0(VALU_DEP_2) | instskip(SKIP_1) | instid1(VALU_DEP_2)
	v_lshlrev_b64 v[7:8], 1, v[7:8]
	s_waitcnt lgkmcnt(0)
	v_add_co_u32 v5, vcc_lo, s2, v5
	s_delay_alu instid0(VALU_DEP_3) | instskip(NEXT) | instid1(VALU_DEP_2)
	v_add_co_ci_u32_e32 v6, vcc_lo, s3, v6, vcc_lo
	v_add_co_u32 v5, vcc_lo, v5, v7
	s_delay_alu instid0(VALU_DEP_2) | instskip(SKIP_3) | instid1(VALU_DEP_2)
	v_add_co_ci_u32_e32 v6, vcc_lo, v6, v8, vcc_lo
	global_load_u16 v5, v[5:6], off
	v_mul_lo_u32 v6, v3, s4
	v_mov_b32_e32 v3, 0
	v_add3_u32 v2, v2, v1, v6
	s_delay_alu instid0(VALU_DEP_2) | instskip(NEXT) | instid1(VALU_DEP_2)
	v_mov_b32_e32 v1, v3
	v_lshlrev_b64 v[2:3], 1, v[2:3]
	s_delay_alu instid0(VALU_DEP_2) | instskip(NEXT) | instid1(VALU_DEP_2)
	v_lshlrev_b64 v[0:1], 1, v[0:1]
	v_add_co_u32 v2, vcc_lo, s0, v2
	s_delay_alu instid0(VALU_DEP_3) | instskip(NEXT) | instid1(VALU_DEP_2)
	v_add_co_ci_u32_e32 v3, vcc_lo, s1, v3, vcc_lo
	v_add_co_u32 v0, vcc_lo, v2, v0
	s_delay_alu instid0(VALU_DEP_2) | instskip(SKIP_2) | instid1(VALU_DEP_1)
	v_add_co_ci_u32_e32 v1, vcc_lo, v3, v1, vcc_lo
	s_waitcnt vmcnt(0)
	v_cvt_f32_f16_e32 v5, v5
	v_sub_f32_e32 v4, v4, v5
	s_delay_alu instid0(VALU_DEP_1)
	v_cvt_f16_f32_e32 v4, v4
	global_store_b16 v[0:1], v4, off
.LBB18_5:
	s_nop 0
	s_sendmsg sendmsg(MSG_DEALLOC_VGPRS)
	s_endpgm
	.section	.rodata,"a",@progbits
	.p2align	6, 0x0
	.amdhsa_kernel _ZL19k_bin_bcast_unravelIXadL_ZL6op_subffEE6__halfS0_S0_JPKS0_EEvPKT0_PKT1_PT2_15HIP_vector_typeIjLj3EESC_SC_jSC_SC_SC_SC_SC_SC_iiiiiiiiiiiDpT3_
		.amdhsa_group_segment_fixed_size 0
		.amdhsa_private_segment_fixed_size 0
		.amdhsa_kernarg_size 448
		.amdhsa_user_sgpr_count 15
		.amdhsa_user_sgpr_dispatch_ptr 0
		.amdhsa_user_sgpr_queue_ptr 0
		.amdhsa_user_sgpr_kernarg_segment_ptr 1
		.amdhsa_user_sgpr_dispatch_id 0
		.amdhsa_user_sgpr_private_segment_size 0
		.amdhsa_wavefront_size32 1
		.amdhsa_uses_dynamic_stack 0
		.amdhsa_enable_private_segment 0
		.amdhsa_system_sgpr_workgroup_id_x 1
		.amdhsa_system_sgpr_workgroup_id_y 0
		.amdhsa_system_sgpr_workgroup_id_z 0
		.amdhsa_system_sgpr_workgroup_info 0
		.amdhsa_system_vgpr_workitem_id 0
		.amdhsa_next_free_vgpr 9
		.amdhsa_next_free_sgpr 28
		.amdhsa_reserve_vcc 1
		.amdhsa_float_round_mode_32 0
		.amdhsa_float_round_mode_16_64 0
		.amdhsa_float_denorm_mode_32 3
		.amdhsa_float_denorm_mode_16_64 3
		.amdhsa_dx10_clamp 1
		.amdhsa_ieee_mode 1
		.amdhsa_fp16_overflow 0
		.amdhsa_workgroup_processor_mode 1
		.amdhsa_memory_ordered 1
		.amdhsa_forward_progress 0
		.amdhsa_shared_vgpr_count 0
		.amdhsa_exception_fp_ieee_invalid_op 0
		.amdhsa_exception_fp_denorm_src 0
		.amdhsa_exception_fp_ieee_div_zero 0
		.amdhsa_exception_fp_ieee_overflow 0
		.amdhsa_exception_fp_ieee_underflow 0
		.amdhsa_exception_fp_ieee_inexact 0
		.amdhsa_exception_int_div_zero 0
	.end_amdhsa_kernel
	.section	.text._ZL19k_bin_bcast_unravelIXadL_ZL6op_subffEE6__halfS0_S0_JPKS0_EEvPKT0_PKT1_PT2_15HIP_vector_typeIjLj3EESC_SC_jSC_SC_SC_SC_SC_SC_iiiiiiiiiiiDpT3_,"axG",@progbits,_ZL19k_bin_bcast_unravelIXadL_ZL6op_subffEE6__halfS0_S0_JPKS0_EEvPKT0_PKT1_PT2_15HIP_vector_typeIjLj3EESC_SC_jSC_SC_SC_SC_SC_SC_iiiiiiiiiiiDpT3_,comdat
.Lfunc_end18:
	.size	_ZL19k_bin_bcast_unravelIXadL_ZL6op_subffEE6__halfS0_S0_JPKS0_EEvPKT0_PKT1_PT2_15HIP_vector_typeIjLj3EESC_SC_jSC_SC_SC_SC_SC_SC_iiiiiiiiiiiDpT3_, .Lfunc_end18-_ZL19k_bin_bcast_unravelIXadL_ZL6op_subffEE6__halfS0_S0_JPKS0_EEvPKT0_PKT1_PT2_15HIP_vector_typeIjLj3EESC_SC_jSC_SC_SC_SC_SC_SC_iiiiiiiiiiiDpT3_
                                        ; -- End function
	.section	.AMDGPU.csdata,"",@progbits
; Kernel info:
; codeLenInByte = 840
; NumSgprs: 30
; NumVgprs: 9
; ScratchSize: 0
; MemoryBound: 0
; FloatMode: 240
; IeeeMode: 1
; LDSByteSize: 0 bytes/workgroup (compile time only)
; SGPRBlocks: 3
; VGPRBlocks: 1
; NumSGPRsForWavesPerEU: 30
; NumVGPRsForWavesPerEU: 9
; Occupancy: 16
; WaveLimiterHint : 1
; COMPUTE_PGM_RSRC2:SCRATCH_EN: 0
; COMPUTE_PGM_RSRC2:USER_SGPR: 15
; COMPUTE_PGM_RSRC2:TRAP_HANDLER: 0
; COMPUTE_PGM_RSRC2:TGID_X_EN: 1
; COMPUTE_PGM_RSRC2:TGID_Y_EN: 0
; COMPUTE_PGM_RSRC2:TGID_Z_EN: 0
; COMPUTE_PGM_RSRC2:TIDIG_COMP_CNT: 0
	.section	.text._ZL11k_bin_bcastIXadL_ZL6op_subffEE6__halfS0_S0_JPKS0_EEvPKT0_PKT1_PT2_iii15HIP_vector_typeIjLj3EESC_SC_SC_SC_iiiiiiiiiiiDpT3_,"axG",@progbits,_ZL11k_bin_bcastIXadL_ZL6op_subffEE6__halfS0_S0_JPKS0_EEvPKT0_PKT1_PT2_iii15HIP_vector_typeIjLj3EESC_SC_SC_SC_iiiiiiiiiiiDpT3_,comdat
	.globl	_ZL11k_bin_bcastIXadL_ZL6op_subffEE6__halfS0_S0_JPKS0_EEvPKT0_PKT1_PT2_iii15HIP_vector_typeIjLj3EESC_SC_SC_SC_iiiiiiiiiiiDpT3_ ; -- Begin function _ZL11k_bin_bcastIXadL_ZL6op_subffEE6__halfS0_S0_JPKS0_EEvPKT0_PKT1_PT2_iii15HIP_vector_typeIjLj3EESC_SC_SC_SC_iiiiiiiiiiiDpT3_
	.p2align	8
	.type	_ZL11k_bin_bcastIXadL_ZL6op_subffEE6__halfS0_S0_JPKS0_EEvPKT0_PKT1_PT2_iii15HIP_vector_typeIjLj3EESC_SC_SC_SC_iiiiiiiiiiiDpT3_,@function
_ZL11k_bin_bcastIXadL_ZL6op_subffEE6__halfS0_S0_JPKS0_EEvPKT0_PKT1_PT2_iii15HIP_vector_typeIjLj3EESC_SC_SC_SC_iiiiiiiiiiiDpT3_: ; @_ZL11k_bin_bcastIXadL_ZL6op_subffEE6__halfS0_S0_JPKS0_EEvPKT0_PKT1_PT2_iii15HIP_vector_typeIjLj3EESC_SC_SC_SC_iiiiiiiiiiiDpT3_
; %bb.0:
	s_clause 0x1
	s_load_b64 s[2:3], s[0:1], 0xa4
	s_load_b256 s[16:23], s[0:1], 0x18
	v_bfe_u32 v1, v0, 20, 10
	s_add_u32 s24, s0, 0x98
	s_addc_u32 s25, s1, 0
	v_bfe_u32 v6, v0, 10, 10
	s_waitcnt lgkmcnt(0)
	s_and_b32 s3, s3, 0xffff
	s_and_b32 s12, s2, 0xffff
	v_mad_u64_u32 v[2:3], null, s15, s3, v[1:2]
	v_and_b32_e32 v3, 0x3ff, v0
	s_lshr_b32 s3, s2, 16
	s_delay_alu instid0(VALU_DEP_2) | instskip(NEXT) | instid1(VALU_DEP_1)
	v_mul_hi_u32 v1, v2, s19
	v_add_nc_u32_e32 v1, v2, v1
	s_delay_alu instid0(VALU_DEP_1) | instskip(SKIP_2) | instid1(VALU_DEP_3)
	v_lshrrev_b32_e32 v5, s20, v1
	v_mad_u64_u32 v[0:1], null, s13, s12, v[3:4]
	v_mad_u64_u32 v[3:4], null, s14, s3, v[6:7]
	v_mul_lo_u32 v1, v5, s21
	v_cmp_gt_u32_e64 s3, s18, v5
	s_delay_alu instid0(VALU_DEP_4) | instskip(NEXT) | instid1(VALU_DEP_4)
	v_cmp_gt_u32_e32 vcc_lo, s16, v0
	v_cmp_gt_u32_e64 s2, s17, v3
	s_delay_alu instid0(VALU_DEP_4) | instskip(NEXT) | instid1(VALU_DEP_2)
	v_sub_nc_u32_e32 v4, v2, v1
	s_and_b32 s2, vcc_lo, s2
	s_delay_alu instid0(SALU_CYCLE_1) | instskip(NEXT) | instid1(VALU_DEP_1)
	s_and_b32 s2, s2, s3
	v_cmp_gt_u32_e64 s4, s21, v4
	s_delay_alu instid0(VALU_DEP_1) | instskip(NEXT) | instid1(SALU_CYCLE_1)
	s_and_b32 s2, s2, s4
	s_and_saveexec_b32 s3, s2
	s_cbranch_execz .LBB19_6
; %bb.1:
	v_cmp_gt_i32_e32 vcc_lo, s16, v0
	s_and_b32 exec_lo, exec_lo, vcc_lo
	s_cbranch_execz .LBB19_6
; %bb.2:
	s_clause 0x2
	s_load_b256 s[36:43], s[0:1], 0x3c
	s_load_b256 s[4:11], s[0:1], 0x60
	s_load_b32 s13, s[0:1], 0x5c
	s_load_b32 s17, s[24:25], 0x0
	s_clause 0x4
	s_load_b128 s[24:27], s[0:1], 0x80
	s_load_b64 s[2:3], s[0:1], 0x0
	s_load_b32 s18, s[0:1], 0x38
	s_load_b64 s[14:15], s[0:1], 0x10
	s_load_b64 s[0:1], s[0:1], 0x90
	s_waitcnt lgkmcnt(0)
	v_mul_hi_u32 v1, s39, v5
	v_mov_b32_e32 v2, 0
	v_mul_hi_u32 v6, s42, v4
	v_mul_hi_u32 v7, s36, v3
	v_mul_lo_u32 v8, v4, s10
	v_mul_lo_u32 v9, v5, s9
	;; [unrolled: 1-line block ×4, first 2 shown]
	v_add_nc_u32_e32 v1, v5, v1
	v_mul_lo_u32 v12, v4, s6
	v_add_nc_u32_e32 v6, v4, v6
	v_add_nc_u32_e32 v7, v3, v7
	v_mul_lo_u32 v14, v3, s4
	v_lshrrev_b32_e32 v1, s40, v1
	s_cmp_lg_u64 s[2:3], 0
	s_delay_alu instid0(VALU_DEP_3) | instskip(NEXT) | instid1(VALU_DEP_2)
	v_lshrrev_b32_e32 v7, s37, v7
	v_mul_lo_u32 v11, v1, s41
	v_add3_u32 v1, v9, v10, v8
	s_delay_alu instid0(VALU_DEP_3) | instskip(NEXT) | instid1(VALU_DEP_3)
	v_mul_lo_u32 v7, v7, s38
	v_sub_nc_u32_e32 v8, v5, v11
	v_mov_b32_e32 v5, v2
	v_lshrrev_b32_e32 v6, s43, v6
	s_delay_alu instid0(VALU_DEP_4) | instskip(NEXT) | instid1(VALU_DEP_2)
	v_sub_nc_u32_e32 v3, v3, v7
	v_mul_lo_u32 v6, v6, s13
	s_delay_alu instid0(VALU_DEP_2) | instskip(SKIP_1) | instid1(VALU_DEP_3)
	v_mul_lo_u32 v9, v3, s24
	v_mul_lo_u32 v3, s7, v0
	v_sub_nc_u32_e32 v4, v4, v6
	v_lshlrev_b64 v[6:7], 1, v[1:2]
	v_mul_lo_u32 v1, v8, s25
	s_delay_alu instid0(VALU_DEP_3) | instskip(SKIP_1) | instid1(VALU_DEP_4)
	v_mul_lo_u32 v8, v4, s26
	v_add3_u32 v4, v13, v14, v12
	v_add_co_u32 v10, vcc_lo, s2, v6
	v_add_co_ci_u32_e32 v6, vcc_lo, s3, v7, vcc_lo
	s_cselect_b32 vcc_lo, -1, 0
	s_mul_i32 s2, s17, s12
	s_delay_alu instid0(VALU_DEP_4) | instskip(NEXT) | instid1(VALU_DEP_2)
	v_add3_u32 v1, v1, v8, v9
	v_cndmask_b32_e32 v6, 0, v6, vcc_lo
	v_lshlrev_b64 v[7:8], 1, v[4:5]
	v_cndmask_b32_e32 v5, 0, v10, vcc_lo
	s_mov_b32 s3, 0
	v_lshlrev_b64 v[9:10], 1, v[1:2]
	s_mul_i32 s4, s2, s7
	s_sub_i32 s5, 0, s18
	v_add_co_u32 v7, vcc_lo, s14, v7
	v_add_co_ci_u32_e32 v8, vcc_lo, s15, v8, vcc_lo
	s_delay_alu instid0(VALU_DEP_3)
	v_add_co_u32 v9, s0, s0, v9
	v_cmp_ne_u64_e32 vcc_lo, 0, v[5:6]
	v_add_co_ci_u32_e64 v10, s0, s1, v10, s0
	s_branch .LBB19_4
.LBB19_3:                               ;   in Loop: Header=BB19_4 Depth=1
	s_or_b32 exec_lo, exec_lo, s1
	v_mul_hi_u32 v1, s22, v0
	v_add_nc_u32_e32 v3, s4, v3
	s_delay_alu instid0(VALU_DEP_2) | instskip(NEXT) | instid1(VALU_DEP_1)
	v_add_nc_u32_e32 v1, v0, v1
	v_lshrrev_b32_e32 v1, s23, v1
	s_delay_alu instid0(VALU_DEP_1) | instskip(NEXT) | instid1(VALU_DEP_1)
	v_mad_u64_u32 v[11:12], null, s5, v1, v[0:1]
	v_mul_lo_u32 v1, v11, s11
	s_delay_alu instid0(VALU_DEP_1) | instskip(SKIP_1) | instid1(VALU_DEP_2)
	v_lshlrev_b64 v[11:12], 1, v[1:2]
	v_ashrrev_i32_e32 v1, 31, v0
	v_add_co_u32 v11, s0, v9, v11
	s_delay_alu instid0(VALU_DEP_1) | instskip(SKIP_4) | instid1(VALU_DEP_2)
	v_add_co_ci_u32_e64 v12, s0, v10, v12, s0
	global_load_u16 v11, v[11:12], off
	s_waitcnt vmcnt(0)
	v_cvt_f32_f16_e32 v13, v11
	v_lshlrev_b64 v[11:12], 1, v[0:1]
	v_dual_sub_f32 v1, v4, v13 :: v_dual_add_nc_u32 v0, s2, v0
	s_delay_alu instid0(VALU_DEP_1) | instskip(NEXT) | instid1(VALU_DEP_3)
	v_cmp_le_i32_e64 s0, s16, v0
	v_add_co_u32 v11, s1, v7, v11
	s_delay_alu instid0(VALU_DEP_3) | instskip(SKIP_1) | instid1(VALU_DEP_4)
	v_cvt_f16_f32_e32 v1, v1
	v_add_co_ci_u32_e64 v12, s1, v8, v12, s1
	s_or_b32 s3, s0, s3
	global_store_b16 v[11:12], v1, off
	s_and_not1_b32 exec_lo, exec_lo, s3
	s_cbranch_execz .LBB19_6
.LBB19_4:                               ; =>This Inner Loop Header: Depth=1
	v_mov_b32_e32 v4, 0
	s_and_saveexec_b32 s1, vcc_lo
	s_cbranch_execz .LBB19_3
; %bb.5:                                ;   in Loop: Header=BB19_4 Depth=1
	v_ashrrev_i32_e32 v4, 31, v3
	s_delay_alu instid0(VALU_DEP_1) | instskip(NEXT) | instid1(VALU_DEP_1)
	v_lshlrev_b64 v[11:12], 1, v[3:4]
	v_add_co_u32 v11, s0, v5, v11
	s_delay_alu instid0(VALU_DEP_1)
	v_add_co_ci_u32_e64 v12, s0, v6, v12, s0
	global_load_u16 v1, v[11:12], off
	s_waitcnt vmcnt(0)
	v_cvt_f32_f16_e32 v4, v1
	s_branch .LBB19_3
.LBB19_6:
	s_nop 0
	s_sendmsg sendmsg(MSG_DEALLOC_VGPRS)
	s_endpgm
	.section	.rodata,"a",@progbits
	.p2align	6, 0x0
	.amdhsa_kernel _ZL11k_bin_bcastIXadL_ZL6op_subffEE6__halfS0_S0_JPKS0_EEvPKT0_PKT1_PT2_iii15HIP_vector_typeIjLj3EESC_SC_SC_SC_iiiiiiiiiiiDpT3_
		.amdhsa_group_segment_fixed_size 0
		.amdhsa_private_segment_fixed_size 0
		.amdhsa_kernarg_size 408
		.amdhsa_user_sgpr_count 13
		.amdhsa_user_sgpr_dispatch_ptr 0
		.amdhsa_user_sgpr_queue_ptr 0
		.amdhsa_user_sgpr_kernarg_segment_ptr 1
		.amdhsa_user_sgpr_dispatch_id 0
		.amdhsa_user_sgpr_private_segment_size 0
		.amdhsa_wavefront_size32 1
		.amdhsa_uses_dynamic_stack 0
		.amdhsa_enable_private_segment 0
		.amdhsa_system_sgpr_workgroup_id_x 1
		.amdhsa_system_sgpr_workgroup_id_y 1
		.amdhsa_system_sgpr_workgroup_id_z 1
		.amdhsa_system_sgpr_workgroup_info 0
		.amdhsa_system_vgpr_workitem_id 2
		.amdhsa_next_free_vgpr 15
		.amdhsa_next_free_sgpr 44
		.amdhsa_reserve_vcc 1
		.amdhsa_float_round_mode_32 0
		.amdhsa_float_round_mode_16_64 0
		.amdhsa_float_denorm_mode_32 3
		.amdhsa_float_denorm_mode_16_64 3
		.amdhsa_dx10_clamp 1
		.amdhsa_ieee_mode 1
		.amdhsa_fp16_overflow 0
		.amdhsa_workgroup_processor_mode 1
		.amdhsa_memory_ordered 1
		.amdhsa_forward_progress 0
		.amdhsa_shared_vgpr_count 0
		.amdhsa_exception_fp_ieee_invalid_op 0
		.amdhsa_exception_fp_denorm_src 0
		.amdhsa_exception_fp_ieee_div_zero 0
		.amdhsa_exception_fp_ieee_overflow 0
		.amdhsa_exception_fp_ieee_underflow 0
		.amdhsa_exception_fp_ieee_inexact 0
		.amdhsa_exception_int_div_zero 0
	.end_amdhsa_kernel
	.section	.text._ZL11k_bin_bcastIXadL_ZL6op_subffEE6__halfS0_S0_JPKS0_EEvPKT0_PKT1_PT2_iii15HIP_vector_typeIjLj3EESC_SC_SC_SC_iiiiiiiiiiiDpT3_,"axG",@progbits,_ZL11k_bin_bcastIXadL_ZL6op_subffEE6__halfS0_S0_JPKS0_EEvPKT0_PKT1_PT2_iii15HIP_vector_typeIjLj3EESC_SC_SC_SC_iiiiiiiiiiiDpT3_,comdat
.Lfunc_end19:
	.size	_ZL11k_bin_bcastIXadL_ZL6op_subffEE6__halfS0_S0_JPKS0_EEvPKT0_PKT1_PT2_iii15HIP_vector_typeIjLj3EESC_SC_SC_SC_iiiiiiiiiiiDpT3_, .Lfunc_end19-_ZL11k_bin_bcastIXadL_ZL6op_subffEE6__halfS0_S0_JPKS0_EEvPKT0_PKT1_PT2_iii15HIP_vector_typeIjLj3EESC_SC_SC_SC_iiiiiiiiiiiDpT3_
                                        ; -- End function
	.section	.AMDGPU.csdata,"",@progbits
; Kernel info:
; codeLenInByte = 880
; NumSgprs: 46
; NumVgprs: 15
; ScratchSize: 0
; MemoryBound: 0
; FloatMode: 240
; IeeeMode: 1
; LDSByteSize: 0 bytes/workgroup (compile time only)
; SGPRBlocks: 5
; VGPRBlocks: 1
; NumSGPRsForWavesPerEU: 46
; NumVGPRsForWavesPerEU: 15
; Occupancy: 16
; WaveLimiterHint : 1
; COMPUTE_PGM_RSRC2:SCRATCH_EN: 0
; COMPUTE_PGM_RSRC2:USER_SGPR: 13
; COMPUTE_PGM_RSRC2:TRAP_HANDLER: 0
; COMPUTE_PGM_RSRC2:TGID_X_EN: 1
; COMPUTE_PGM_RSRC2:TGID_Y_EN: 1
; COMPUTE_PGM_RSRC2:TGID_Z_EN: 1
; COMPUTE_PGM_RSRC2:TIDIG_COMP_CNT: 2
	.section	.text._ZL19k_bin_bcast_unravelIXadL_ZL6op_subffEE6__halffS0_JPKfEEvPKT0_PKT1_PT2_15HIP_vector_typeIjLj3EESC_SC_jSC_SC_SC_SC_SC_SC_iiiiiiiiiiiDpT3_,"axG",@progbits,_ZL19k_bin_bcast_unravelIXadL_ZL6op_subffEE6__halffS0_JPKfEEvPKT0_PKT1_PT2_15HIP_vector_typeIjLj3EESC_SC_jSC_SC_SC_SC_SC_SC_iiiiiiiiiiiDpT3_,comdat
	.globl	_ZL19k_bin_bcast_unravelIXadL_ZL6op_subffEE6__halffS0_JPKfEEvPKT0_PKT1_PT2_15HIP_vector_typeIjLj3EESC_SC_jSC_SC_SC_SC_SC_SC_iiiiiiiiiiiDpT3_ ; -- Begin function _ZL19k_bin_bcast_unravelIXadL_ZL6op_subffEE6__halffS0_JPKfEEvPKT0_PKT1_PT2_15HIP_vector_typeIjLj3EESC_SC_jSC_SC_SC_SC_SC_SC_iiiiiiiiiiiDpT3_
	.p2align	8
	.type	_ZL19k_bin_bcast_unravelIXadL_ZL6op_subffEE6__halffS0_JPKfEEvPKT0_PKT1_PT2_15HIP_vector_typeIjLj3EESC_SC_jSC_SC_SC_SC_SC_SC_iiiiiiiiiiiDpT3_,@function
_ZL19k_bin_bcast_unravelIXadL_ZL6op_subffEE6__halffS0_JPKfEEvPKT0_PKT1_PT2_15HIP_vector_typeIjLj3EESC_SC_jSC_SC_SC_SC_SC_SC_iiiiiiiiiiiDpT3_: ; @_ZL19k_bin_bcast_unravelIXadL_ZL6op_subffEE6__halffS0_JPKfEEvPKT0_PKT1_PT2_15HIP_vector_typeIjLj3EESC_SC_jSC_SC_SC_SC_SC_SC_iiiiiiiiiiiDpT3_
; %bb.0:
	s_clause 0x1
	s_load_b32 s2, s[0:1], 0xcc
	s_load_b256 s[4:11], s[0:1], 0x38
	s_waitcnt lgkmcnt(0)
	s_and_b32 s2, s2, 0xffff
	s_delay_alu instid0(SALU_CYCLE_1) | instskip(SKIP_3) | instid1(VALU_DEP_1)
	v_mad_u64_u32 v[2:3], null, s15, s2, v[0:1]
	s_clause 0x1
	s_load_b128 s[12:15], s[0:1], 0x18
	s_load_b32 s2, s[0:1], 0x2c
	v_mul_hi_u32 v0, v2, s6
	s_delay_alu instid0(VALU_DEP_1) | instskip(NEXT) | instid1(VALU_DEP_1)
	v_add_nc_u32_e32 v0, v2, v0
	v_lshrrev_b32_e32 v1, s7, v0
	s_delay_alu instid0(VALU_DEP_1) | instskip(NEXT) | instid1(VALU_DEP_1)
	v_mul_lo_u32 v0, v1, s8
	v_sub_nc_u32_e32 v0, v2, v0
	s_delay_alu instid0(VALU_DEP_1) | instskip(NEXT) | instid1(VALU_DEP_1)
	v_mul_hi_u32 v2, v0, s9
	v_add_nc_u32_e32 v2, v0, v2
	s_delay_alu instid0(VALU_DEP_1) | instskip(NEXT) | instid1(VALU_DEP_1)
	v_lshrrev_b32_e32 v2, s10, v2
	v_mul_lo_u32 v3, v2, s11
	v_cmp_gt_u32_e64 s3, s4, v2
	v_cmp_gt_u32_e64 s4, s5, v1
	s_delay_alu instid0(VALU_DEP_3) | instskip(SKIP_1) | instid1(VALU_DEP_1)
	v_sub_nc_u32_e32 v0, v0, v3
	s_waitcnt lgkmcnt(0)
	v_mul_hi_u32 v3, v0, s12
	s_delay_alu instid0(VALU_DEP_1) | instskip(NEXT) | instid1(VALU_DEP_1)
	v_add_nc_u32_e32 v3, v0, v3
	v_lshrrev_b32_e32 v3, s13, v3
	s_delay_alu instid0(VALU_DEP_1) | instskip(SKIP_1) | instid1(VALU_DEP_2)
	v_mul_lo_u32 v4, v3, s14
	v_cmp_gt_u32_e64 s2, s2, v3
	v_sub_nc_u32_e32 v0, v0, v4
	s_delay_alu instid0(VALU_DEP_1) | instskip(NEXT) | instid1(VALU_DEP_3)
	v_cmp_gt_u32_e32 vcc_lo, s14, v0
	s_and_b32 s2, vcc_lo, s2
	s_delay_alu instid0(SALU_CYCLE_1) | instskip(NEXT) | instid1(SALU_CYCLE_1)
	s_and_b32 s2, s2, s3
	s_and_b32 s2, s4, s2
	s_delay_alu instid0(SALU_CYCLE_1)
	s_and_saveexec_b32 s3, s2
	s_cbranch_execz .LBB20_5
; %bb.1:
	s_clause 0x4
	s_load_b64 s[2:3], s[0:1], 0x0
	s_load_b128 s[20:23], s[0:1], 0xa8
	s_load_b256 s[4:11], s[0:1], 0x88
	s_load_b128 s[24:27], s[0:1], 0x78
	s_load_b256 s[12:19], s[0:1], 0x58
	s_waitcnt lgkmcnt(0)
	s_cmp_eq_u64 s[2:3], 0
	s_cbranch_scc1 .LBB20_3
; %bb.2:
	v_mul_lo_u32 v4, v1, s10
	v_mul_lo_u32 v6, v2, s9
	;; [unrolled: 1-line block ×3, first 2 shown]
	v_mov_b32_e32 v5, 0
	s_delay_alu instid0(VALU_DEP_2) | instskip(NEXT) | instid1(VALU_DEP_1)
	v_add3_u32 v4, v6, v4, v7
	v_lshlrev_b64 v[6:7], 1, v[4:5]
	v_mul_lo_u32 v4, v0, s7
	s_delay_alu instid0(VALU_DEP_2) | instskip(NEXT) | instid1(VALU_DEP_3)
	v_add_co_u32 v6, vcc_lo, s2, v6
	v_add_co_ci_u32_e32 v7, vcc_lo, s3, v7, vcc_lo
	s_delay_alu instid0(VALU_DEP_3) | instskip(NEXT) | instid1(VALU_DEP_1)
	v_lshlrev_b64 v[4:5], 1, v[4:5]
	v_add_co_u32 v4, vcc_lo, v6, v4
	s_delay_alu instid0(VALU_DEP_2)
	v_add_co_ci_u32_e32 v5, vcc_lo, v7, v5, vcc_lo
	global_load_u16 v4, v[4:5], off
	s_waitcnt vmcnt(0)
	v_cvt_f32_f16_e32 v4, v4
	s_branch .LBB20_4
.LBB20_3:
	v_mov_b32_e32 v4, 0
.LBB20_4:
	v_mul_hi_u32 v5, s25, v1
	v_mul_hi_u32 v6, s18, v2
	v_mul_hi_u32 v7, s15, v3
	v_mul_hi_u32 v8, s12, v0
	s_clause 0x1
	s_load_b64 s[2:3], s[0:1], 0xb8
	s_load_b64 s[0:1], s[0:1], 0x10
	s_delay_alu instid0(VALU_DEP_4) | instskip(NEXT) | instid1(VALU_DEP_4)
	v_add_nc_u32_e32 v5, v1, v5
	v_add_nc_u32_e32 v6, v2, v6
	s_delay_alu instid0(VALU_DEP_4) | instskip(NEXT) | instid1(VALU_DEP_4)
	v_add_nc_u32_e32 v7, v3, v7
	v_add_nc_u32_e32 v8, v0, v8
	s_delay_alu instid0(VALU_DEP_4) | instskip(NEXT) | instid1(VALU_DEP_4)
	v_lshrrev_b32_e32 v5, s26, v5
	v_lshrrev_b32_e32 v6, s19, v6
	s_delay_alu instid0(VALU_DEP_4) | instskip(NEXT) | instid1(VALU_DEP_4)
	v_lshrrev_b32_e32 v7, s16, v7
	v_lshrrev_b32_e32 v8, s13, v8
	s_delay_alu instid0(VALU_DEP_4) | instskip(NEXT) | instid1(VALU_DEP_4)
	v_mul_lo_u32 v5, v5, s27
	v_mul_lo_u32 v6, v6, s24
	s_delay_alu instid0(VALU_DEP_4) | instskip(NEXT) | instid1(VALU_DEP_4)
	v_mul_lo_u32 v7, v7, s17
	v_mul_lo_u32 v8, v8, s14
	s_delay_alu instid0(VALU_DEP_4) | instskip(NEXT) | instid1(VALU_DEP_4)
	v_sub_nc_u32_e32 v5, v1, v5
	v_sub_nc_u32_e32 v6, v2, v6
	s_delay_alu instid0(VALU_DEP_4) | instskip(NEXT) | instid1(VALU_DEP_4)
	v_sub_nc_u32_e32 v7, v3, v7
	v_sub_nc_u32_e32 v8, v0, v8
	v_mul_lo_u32 v1, v1, s6
	v_mul_lo_u32 v5, v5, s22
	;; [unrolled: 1-line block ×5, first 2 shown]
	s_delay_alu instid0(VALU_DEP_2) | instskip(SKIP_1) | instid1(VALU_DEP_2)
	v_add3_u32 v5, v6, v5, v7
	v_mul_lo_u32 v7, v8, s11
	v_ashrrev_i32_e32 v6, 31, v5
	s_delay_alu instid0(VALU_DEP_2) | instskip(NEXT) | instid1(VALU_DEP_2)
	v_ashrrev_i32_e32 v8, 31, v7
	v_lshlrev_b64 v[5:6], 2, v[5:6]
	s_delay_alu instid0(VALU_DEP_2) | instskip(SKIP_1) | instid1(VALU_DEP_2)
	v_lshlrev_b64 v[7:8], 2, v[7:8]
	s_waitcnt lgkmcnt(0)
	v_add_co_u32 v5, vcc_lo, s2, v5
	s_delay_alu instid0(VALU_DEP_3) | instskip(NEXT) | instid1(VALU_DEP_2)
	v_add_co_ci_u32_e32 v6, vcc_lo, s3, v6, vcc_lo
	v_add_co_u32 v5, vcc_lo, v5, v7
	s_delay_alu instid0(VALU_DEP_2) | instskip(SKIP_3) | instid1(VALU_DEP_2)
	v_add_co_ci_u32_e32 v6, vcc_lo, v6, v8, vcc_lo
	global_load_b32 v5, v[5:6], off
	v_mul_lo_u32 v6, v3, s4
	v_mov_b32_e32 v3, 0
	v_add3_u32 v2, v2, v1, v6
	s_delay_alu instid0(VALU_DEP_2) | instskip(NEXT) | instid1(VALU_DEP_2)
	v_mov_b32_e32 v1, v3
	v_lshlrev_b64 v[2:3], 1, v[2:3]
	s_delay_alu instid0(VALU_DEP_2) | instskip(NEXT) | instid1(VALU_DEP_2)
	v_lshlrev_b64 v[0:1], 1, v[0:1]
	v_add_co_u32 v2, vcc_lo, s0, v2
	s_delay_alu instid0(VALU_DEP_3) | instskip(NEXT) | instid1(VALU_DEP_2)
	v_add_co_ci_u32_e32 v3, vcc_lo, s1, v3, vcc_lo
	v_add_co_u32 v0, vcc_lo, v2, v0
	s_delay_alu instid0(VALU_DEP_2) | instskip(SKIP_2) | instid1(VALU_DEP_1)
	v_add_co_ci_u32_e32 v1, vcc_lo, v3, v1, vcc_lo
	s_waitcnt vmcnt(0)
	v_sub_f32_e32 v4, v4, v5
	v_cvt_f16_f32_e32 v4, v4
	global_store_b16 v[0:1], v4, off
.LBB20_5:
	s_nop 0
	s_sendmsg sendmsg(MSG_DEALLOC_VGPRS)
	s_endpgm
	.section	.rodata,"a",@progbits
	.p2align	6, 0x0
	.amdhsa_kernel _ZL19k_bin_bcast_unravelIXadL_ZL6op_subffEE6__halffS0_JPKfEEvPKT0_PKT1_PT2_15HIP_vector_typeIjLj3EESC_SC_jSC_SC_SC_SC_SC_SC_iiiiiiiiiiiDpT3_
		.amdhsa_group_segment_fixed_size 0
		.amdhsa_private_segment_fixed_size 0
		.amdhsa_kernarg_size 448
		.amdhsa_user_sgpr_count 15
		.amdhsa_user_sgpr_dispatch_ptr 0
		.amdhsa_user_sgpr_queue_ptr 0
		.amdhsa_user_sgpr_kernarg_segment_ptr 1
		.amdhsa_user_sgpr_dispatch_id 0
		.amdhsa_user_sgpr_private_segment_size 0
		.amdhsa_wavefront_size32 1
		.amdhsa_uses_dynamic_stack 0
		.amdhsa_enable_private_segment 0
		.amdhsa_system_sgpr_workgroup_id_x 1
		.amdhsa_system_sgpr_workgroup_id_y 0
		.amdhsa_system_sgpr_workgroup_id_z 0
		.amdhsa_system_sgpr_workgroup_info 0
		.amdhsa_system_vgpr_workitem_id 0
		.amdhsa_next_free_vgpr 9
		.amdhsa_next_free_sgpr 28
		.amdhsa_reserve_vcc 1
		.amdhsa_float_round_mode_32 0
		.amdhsa_float_round_mode_16_64 0
		.amdhsa_float_denorm_mode_32 3
		.amdhsa_float_denorm_mode_16_64 3
		.amdhsa_dx10_clamp 1
		.amdhsa_ieee_mode 1
		.amdhsa_fp16_overflow 0
		.amdhsa_workgroup_processor_mode 1
		.amdhsa_memory_ordered 1
		.amdhsa_forward_progress 0
		.amdhsa_shared_vgpr_count 0
		.amdhsa_exception_fp_ieee_invalid_op 0
		.amdhsa_exception_fp_denorm_src 0
		.amdhsa_exception_fp_ieee_div_zero 0
		.amdhsa_exception_fp_ieee_overflow 0
		.amdhsa_exception_fp_ieee_underflow 0
		.amdhsa_exception_fp_ieee_inexact 0
		.amdhsa_exception_int_div_zero 0
	.end_amdhsa_kernel
	.section	.text._ZL19k_bin_bcast_unravelIXadL_ZL6op_subffEE6__halffS0_JPKfEEvPKT0_PKT1_PT2_15HIP_vector_typeIjLj3EESC_SC_jSC_SC_SC_SC_SC_SC_iiiiiiiiiiiDpT3_,"axG",@progbits,_ZL19k_bin_bcast_unravelIXadL_ZL6op_subffEE6__halffS0_JPKfEEvPKT0_PKT1_PT2_15HIP_vector_typeIjLj3EESC_SC_jSC_SC_SC_SC_SC_SC_iiiiiiiiiiiDpT3_,comdat
.Lfunc_end20:
	.size	_ZL19k_bin_bcast_unravelIXadL_ZL6op_subffEE6__halffS0_JPKfEEvPKT0_PKT1_PT2_15HIP_vector_typeIjLj3EESC_SC_jSC_SC_SC_SC_SC_SC_iiiiiiiiiiiDpT3_, .Lfunc_end20-_ZL19k_bin_bcast_unravelIXadL_ZL6op_subffEE6__halffS0_JPKfEEvPKT0_PKT1_PT2_15HIP_vector_typeIjLj3EESC_SC_jSC_SC_SC_SC_SC_SC_iiiiiiiiiiiDpT3_
                                        ; -- End function
	.section	.AMDGPU.csdata,"",@progbits
; Kernel info:
; codeLenInByte = 832
; NumSgprs: 30
; NumVgprs: 9
; ScratchSize: 0
; MemoryBound: 0
; FloatMode: 240
; IeeeMode: 1
; LDSByteSize: 0 bytes/workgroup (compile time only)
; SGPRBlocks: 3
; VGPRBlocks: 1
; NumSGPRsForWavesPerEU: 30
; NumVGPRsForWavesPerEU: 9
; Occupancy: 16
; WaveLimiterHint : 1
; COMPUTE_PGM_RSRC2:SCRATCH_EN: 0
; COMPUTE_PGM_RSRC2:USER_SGPR: 15
; COMPUTE_PGM_RSRC2:TRAP_HANDLER: 0
; COMPUTE_PGM_RSRC2:TGID_X_EN: 1
; COMPUTE_PGM_RSRC2:TGID_Y_EN: 0
; COMPUTE_PGM_RSRC2:TGID_Z_EN: 0
; COMPUTE_PGM_RSRC2:TIDIG_COMP_CNT: 0
	.section	.text._ZL11k_bin_bcastIXadL_ZL6op_subffEE6__halffS0_JPKfEEvPKT0_PKT1_PT2_iii15HIP_vector_typeIjLj3EESC_SC_SC_SC_iiiiiiiiiiiDpT3_,"axG",@progbits,_ZL11k_bin_bcastIXadL_ZL6op_subffEE6__halffS0_JPKfEEvPKT0_PKT1_PT2_iii15HIP_vector_typeIjLj3EESC_SC_SC_SC_iiiiiiiiiiiDpT3_,comdat
	.globl	_ZL11k_bin_bcastIXadL_ZL6op_subffEE6__halffS0_JPKfEEvPKT0_PKT1_PT2_iii15HIP_vector_typeIjLj3EESC_SC_SC_SC_iiiiiiiiiiiDpT3_ ; -- Begin function _ZL11k_bin_bcastIXadL_ZL6op_subffEE6__halffS0_JPKfEEvPKT0_PKT1_PT2_iii15HIP_vector_typeIjLj3EESC_SC_SC_SC_iiiiiiiiiiiDpT3_
	.p2align	8
	.type	_ZL11k_bin_bcastIXadL_ZL6op_subffEE6__halffS0_JPKfEEvPKT0_PKT1_PT2_iii15HIP_vector_typeIjLj3EESC_SC_SC_SC_iiiiiiiiiiiDpT3_,@function
_ZL11k_bin_bcastIXadL_ZL6op_subffEE6__halffS0_JPKfEEvPKT0_PKT1_PT2_iii15HIP_vector_typeIjLj3EESC_SC_SC_SC_iiiiiiiiiiiDpT3_: ; @_ZL11k_bin_bcastIXadL_ZL6op_subffEE6__halffS0_JPKfEEvPKT0_PKT1_PT2_iii15HIP_vector_typeIjLj3EESC_SC_SC_SC_iiiiiiiiiiiDpT3_
; %bb.0:
	s_clause 0x1
	s_load_b64 s[2:3], s[0:1], 0xa4
	s_load_b256 s[16:23], s[0:1], 0x18
	v_bfe_u32 v1, v0, 20, 10
	s_add_u32 s24, s0, 0x98
	s_addc_u32 s25, s1, 0
	v_bfe_u32 v6, v0, 10, 10
	s_waitcnt lgkmcnt(0)
	s_and_b32 s3, s3, 0xffff
	s_and_b32 s12, s2, 0xffff
	v_mad_u64_u32 v[2:3], null, s15, s3, v[1:2]
	v_and_b32_e32 v3, 0x3ff, v0
	s_lshr_b32 s3, s2, 16
	s_delay_alu instid0(VALU_DEP_2) | instskip(NEXT) | instid1(VALU_DEP_1)
	v_mul_hi_u32 v1, v2, s19
	v_add_nc_u32_e32 v1, v2, v1
	s_delay_alu instid0(VALU_DEP_1) | instskip(SKIP_2) | instid1(VALU_DEP_3)
	v_lshrrev_b32_e32 v5, s20, v1
	v_mad_u64_u32 v[0:1], null, s13, s12, v[3:4]
	v_mad_u64_u32 v[3:4], null, s14, s3, v[6:7]
	v_mul_lo_u32 v1, v5, s21
	v_cmp_gt_u32_e64 s3, s18, v5
	s_delay_alu instid0(VALU_DEP_4) | instskip(NEXT) | instid1(VALU_DEP_4)
	v_cmp_gt_u32_e32 vcc_lo, s16, v0
	v_cmp_gt_u32_e64 s2, s17, v3
	s_delay_alu instid0(VALU_DEP_4) | instskip(NEXT) | instid1(VALU_DEP_2)
	v_sub_nc_u32_e32 v4, v2, v1
	s_and_b32 s2, vcc_lo, s2
	s_delay_alu instid0(SALU_CYCLE_1) | instskip(NEXT) | instid1(VALU_DEP_1)
	s_and_b32 s2, s2, s3
	v_cmp_gt_u32_e64 s4, s21, v4
	s_delay_alu instid0(VALU_DEP_1) | instskip(NEXT) | instid1(SALU_CYCLE_1)
	s_and_b32 s2, s2, s4
	s_and_saveexec_b32 s3, s2
	s_cbranch_execz .LBB21_6
; %bb.1:
	v_cmp_gt_i32_e32 vcc_lo, s16, v0
	s_and_b32 exec_lo, exec_lo, vcc_lo
	s_cbranch_execz .LBB21_6
; %bb.2:
	s_clause 0x2
	s_load_b256 s[36:43], s[0:1], 0x3c
	s_load_b256 s[4:11], s[0:1], 0x60
	s_load_b32 s13, s[0:1], 0x5c
	s_load_b32 s17, s[24:25], 0x0
	s_clause 0x4
	s_load_b128 s[24:27], s[0:1], 0x80
	s_load_b64 s[2:3], s[0:1], 0x0
	s_load_b32 s18, s[0:1], 0x38
	s_load_b64 s[14:15], s[0:1], 0x10
	s_load_b64 s[0:1], s[0:1], 0x90
	s_waitcnt lgkmcnt(0)
	v_mul_hi_u32 v1, s39, v5
	v_mov_b32_e32 v2, 0
	v_mul_hi_u32 v6, s42, v4
	v_mul_hi_u32 v7, s36, v3
	v_mul_lo_u32 v8, v4, s10
	v_mul_lo_u32 v9, v5, s9
	;; [unrolled: 1-line block ×4, first 2 shown]
	v_add_nc_u32_e32 v1, v5, v1
	v_mul_lo_u32 v12, v4, s6
	v_add_nc_u32_e32 v6, v4, v6
	v_add_nc_u32_e32 v7, v3, v7
	v_mul_lo_u32 v14, v3, s4
	v_lshrrev_b32_e32 v1, s40, v1
	s_cmp_lg_u64 s[2:3], 0
	s_delay_alu instid0(VALU_DEP_3) | instskip(NEXT) | instid1(VALU_DEP_2)
	v_lshrrev_b32_e32 v7, s37, v7
	v_mul_lo_u32 v11, v1, s41
	v_add3_u32 v1, v9, v10, v8
	s_delay_alu instid0(VALU_DEP_3) | instskip(NEXT) | instid1(VALU_DEP_3)
	v_mul_lo_u32 v7, v7, s38
	v_sub_nc_u32_e32 v8, v5, v11
	v_mov_b32_e32 v5, v2
	v_lshrrev_b32_e32 v6, s43, v6
	s_delay_alu instid0(VALU_DEP_4) | instskip(NEXT) | instid1(VALU_DEP_2)
	v_sub_nc_u32_e32 v3, v3, v7
	v_mul_lo_u32 v6, v6, s13
	s_delay_alu instid0(VALU_DEP_2) | instskip(SKIP_1) | instid1(VALU_DEP_3)
	v_mul_lo_u32 v9, v3, s24
	v_mul_lo_u32 v3, s7, v0
	v_sub_nc_u32_e32 v4, v4, v6
	v_lshlrev_b64 v[6:7], 1, v[1:2]
	v_mul_lo_u32 v1, v8, s25
	s_delay_alu instid0(VALU_DEP_3) | instskip(SKIP_1) | instid1(VALU_DEP_4)
	v_mul_lo_u32 v8, v4, s26
	v_add3_u32 v4, v13, v14, v12
	v_add_co_u32 v10, vcc_lo, s2, v6
	v_add_co_ci_u32_e32 v6, vcc_lo, s3, v7, vcc_lo
	s_cselect_b32 vcc_lo, -1, 0
	s_mul_i32 s2, s17, s12
	s_delay_alu instid0(VALU_DEP_4) | instskip(NEXT) | instid1(VALU_DEP_2)
	v_add3_u32 v1, v1, v8, v9
	v_cndmask_b32_e32 v6, 0, v6, vcc_lo
	v_lshlrev_b64 v[7:8], 1, v[4:5]
	v_cndmask_b32_e32 v5, 0, v10, vcc_lo
	s_mov_b32 s3, 0
	v_lshlrev_b64 v[9:10], 2, v[1:2]
	s_mul_i32 s4, s2, s7
	s_sub_i32 s5, 0, s18
	v_add_co_u32 v7, vcc_lo, s14, v7
	v_add_co_ci_u32_e32 v8, vcc_lo, s15, v8, vcc_lo
	s_delay_alu instid0(VALU_DEP_3)
	v_add_co_u32 v9, s0, s0, v9
	v_cmp_ne_u64_e32 vcc_lo, 0, v[5:6]
	v_add_co_ci_u32_e64 v10, s0, s1, v10, s0
	s_branch .LBB21_4
.LBB21_3:                               ;   in Loop: Header=BB21_4 Depth=1
	s_or_b32 exec_lo, exec_lo, s1
	v_mul_hi_u32 v1, s22, v0
	v_add_nc_u32_e32 v3, s4, v3
	s_delay_alu instid0(VALU_DEP_2) | instskip(NEXT) | instid1(VALU_DEP_1)
	v_add_nc_u32_e32 v1, v0, v1
	v_lshrrev_b32_e32 v1, s23, v1
	s_delay_alu instid0(VALU_DEP_1) | instskip(NEXT) | instid1(VALU_DEP_1)
	v_mad_u64_u32 v[11:12], null, s5, v1, v[0:1]
	v_mul_lo_u32 v1, v11, s11
	s_delay_alu instid0(VALU_DEP_1) | instskip(SKIP_1) | instid1(VALU_DEP_2)
	v_lshlrev_b64 v[11:12], 2, v[1:2]
	v_ashrrev_i32_e32 v1, 31, v0
	v_add_co_u32 v11, s0, v9, v11
	s_delay_alu instid0(VALU_DEP_1) | instskip(SKIP_3) | instid1(VALU_DEP_2)
	v_add_co_ci_u32_e64 v12, s0, v10, v12, s0
	global_load_b32 v13, v[11:12], off
	v_lshlrev_b64 v[11:12], 1, v[0:1]
	v_add_nc_u32_e32 v0, s2, v0
	v_add_co_u32 v11, s1, v7, v11
	s_delay_alu instid0(VALU_DEP_1) | instskip(SKIP_3) | instid1(VALU_DEP_2)
	v_add_co_ci_u32_e64 v12, s1, v8, v12, s1
	s_waitcnt vmcnt(0)
	v_sub_f32_e32 v1, v4, v13
	v_cmp_le_i32_e64 s0, s16, v0
	v_cvt_f16_f32_e32 v1, v1
	s_delay_alu instid0(VALU_DEP_2)
	s_or_b32 s3, s0, s3
	global_store_b16 v[11:12], v1, off
	s_and_not1_b32 exec_lo, exec_lo, s3
	s_cbranch_execz .LBB21_6
.LBB21_4:                               ; =>This Inner Loop Header: Depth=1
	v_mov_b32_e32 v4, 0
	s_and_saveexec_b32 s1, vcc_lo
	s_cbranch_execz .LBB21_3
; %bb.5:                                ;   in Loop: Header=BB21_4 Depth=1
	v_ashrrev_i32_e32 v4, 31, v3
	s_delay_alu instid0(VALU_DEP_1) | instskip(NEXT) | instid1(VALU_DEP_1)
	v_lshlrev_b64 v[11:12], 1, v[3:4]
	v_add_co_u32 v11, s0, v5, v11
	s_delay_alu instid0(VALU_DEP_1)
	v_add_co_ci_u32_e64 v12, s0, v6, v12, s0
	global_load_u16 v1, v[11:12], off
	s_waitcnt vmcnt(0)
	v_cvt_f32_f16_e32 v4, v1
	s_branch .LBB21_3
.LBB21_6:
	s_nop 0
	s_sendmsg sendmsg(MSG_DEALLOC_VGPRS)
	s_endpgm
	.section	.rodata,"a",@progbits
	.p2align	6, 0x0
	.amdhsa_kernel _ZL11k_bin_bcastIXadL_ZL6op_subffEE6__halffS0_JPKfEEvPKT0_PKT1_PT2_iii15HIP_vector_typeIjLj3EESC_SC_SC_SC_iiiiiiiiiiiDpT3_
		.amdhsa_group_segment_fixed_size 0
		.amdhsa_private_segment_fixed_size 0
		.amdhsa_kernarg_size 408
		.amdhsa_user_sgpr_count 13
		.amdhsa_user_sgpr_dispatch_ptr 0
		.amdhsa_user_sgpr_queue_ptr 0
		.amdhsa_user_sgpr_kernarg_segment_ptr 1
		.amdhsa_user_sgpr_dispatch_id 0
		.amdhsa_user_sgpr_private_segment_size 0
		.amdhsa_wavefront_size32 1
		.amdhsa_uses_dynamic_stack 0
		.amdhsa_enable_private_segment 0
		.amdhsa_system_sgpr_workgroup_id_x 1
		.amdhsa_system_sgpr_workgroup_id_y 1
		.amdhsa_system_sgpr_workgroup_id_z 1
		.amdhsa_system_sgpr_workgroup_info 0
		.amdhsa_system_vgpr_workitem_id 2
		.amdhsa_next_free_vgpr 15
		.amdhsa_next_free_sgpr 44
		.amdhsa_reserve_vcc 1
		.amdhsa_float_round_mode_32 0
		.amdhsa_float_round_mode_16_64 0
		.amdhsa_float_denorm_mode_32 3
		.amdhsa_float_denorm_mode_16_64 3
		.amdhsa_dx10_clamp 1
		.amdhsa_ieee_mode 1
		.amdhsa_fp16_overflow 0
		.amdhsa_workgroup_processor_mode 1
		.amdhsa_memory_ordered 1
		.amdhsa_forward_progress 0
		.amdhsa_shared_vgpr_count 0
		.amdhsa_exception_fp_ieee_invalid_op 0
		.amdhsa_exception_fp_denorm_src 0
		.amdhsa_exception_fp_ieee_div_zero 0
		.amdhsa_exception_fp_ieee_overflow 0
		.amdhsa_exception_fp_ieee_underflow 0
		.amdhsa_exception_fp_ieee_inexact 0
		.amdhsa_exception_int_div_zero 0
	.end_amdhsa_kernel
	.section	.text._ZL11k_bin_bcastIXadL_ZL6op_subffEE6__halffS0_JPKfEEvPKT0_PKT1_PT2_iii15HIP_vector_typeIjLj3EESC_SC_SC_SC_iiiiiiiiiiiDpT3_,"axG",@progbits,_ZL11k_bin_bcastIXadL_ZL6op_subffEE6__halffS0_JPKfEEvPKT0_PKT1_PT2_iii15HIP_vector_typeIjLj3EESC_SC_SC_SC_iiiiiiiiiiiDpT3_,comdat
.Lfunc_end21:
	.size	_ZL11k_bin_bcastIXadL_ZL6op_subffEE6__halffS0_JPKfEEvPKT0_PKT1_PT2_iii15HIP_vector_typeIjLj3EESC_SC_SC_SC_iiiiiiiiiiiDpT3_, .Lfunc_end21-_ZL11k_bin_bcastIXadL_ZL6op_subffEE6__halffS0_JPKfEEvPKT0_PKT1_PT2_iii15HIP_vector_typeIjLj3EESC_SC_SC_SC_iiiiiiiiiiiDpT3_
                                        ; -- End function
	.section	.AMDGPU.csdata,"",@progbits
; Kernel info:
; codeLenInByte = 876
; NumSgprs: 46
; NumVgprs: 15
; ScratchSize: 0
; MemoryBound: 0
; FloatMode: 240
; IeeeMode: 1
; LDSByteSize: 0 bytes/workgroup (compile time only)
; SGPRBlocks: 5
; VGPRBlocks: 1
; NumSGPRsForWavesPerEU: 46
; NumVGPRsForWavesPerEU: 15
; Occupancy: 16
; WaveLimiterHint : 1
; COMPUTE_PGM_RSRC2:SCRATCH_EN: 0
; COMPUTE_PGM_RSRC2:USER_SGPR: 13
; COMPUTE_PGM_RSRC2:TRAP_HANDLER: 0
; COMPUTE_PGM_RSRC2:TGID_X_EN: 1
; COMPUTE_PGM_RSRC2:TGID_Y_EN: 1
; COMPUTE_PGM_RSRC2:TGID_Z_EN: 1
; COMPUTE_PGM_RSRC2:TIDIG_COMP_CNT: 2
	.section	.text._ZL19k_bin_bcast_unravelIXadL_ZL6op_subffEE6__halfffJPKfEEvPKT0_PKT1_PT2_15HIP_vector_typeIjLj3EESC_SC_jSC_SC_SC_SC_SC_SC_iiiiiiiiiiiDpT3_,"axG",@progbits,_ZL19k_bin_bcast_unravelIXadL_ZL6op_subffEE6__halfffJPKfEEvPKT0_PKT1_PT2_15HIP_vector_typeIjLj3EESC_SC_jSC_SC_SC_SC_SC_SC_iiiiiiiiiiiDpT3_,comdat
	.globl	_ZL19k_bin_bcast_unravelIXadL_ZL6op_subffEE6__halfffJPKfEEvPKT0_PKT1_PT2_15HIP_vector_typeIjLj3EESC_SC_jSC_SC_SC_SC_SC_SC_iiiiiiiiiiiDpT3_ ; -- Begin function _ZL19k_bin_bcast_unravelIXadL_ZL6op_subffEE6__halfffJPKfEEvPKT0_PKT1_PT2_15HIP_vector_typeIjLj3EESC_SC_jSC_SC_SC_SC_SC_SC_iiiiiiiiiiiDpT3_
	.p2align	8
	.type	_ZL19k_bin_bcast_unravelIXadL_ZL6op_subffEE6__halfffJPKfEEvPKT0_PKT1_PT2_15HIP_vector_typeIjLj3EESC_SC_jSC_SC_SC_SC_SC_SC_iiiiiiiiiiiDpT3_,@function
_ZL19k_bin_bcast_unravelIXadL_ZL6op_subffEE6__halfffJPKfEEvPKT0_PKT1_PT2_15HIP_vector_typeIjLj3EESC_SC_jSC_SC_SC_SC_SC_SC_iiiiiiiiiiiDpT3_: ; @_ZL19k_bin_bcast_unravelIXadL_ZL6op_subffEE6__halfffJPKfEEvPKT0_PKT1_PT2_15HIP_vector_typeIjLj3EESC_SC_jSC_SC_SC_SC_SC_SC_iiiiiiiiiiiDpT3_
; %bb.0:
	s_clause 0x1
	s_load_b32 s2, s[0:1], 0xcc
	s_load_b256 s[4:11], s[0:1], 0x38
	s_waitcnt lgkmcnt(0)
	s_and_b32 s2, s2, 0xffff
	s_delay_alu instid0(SALU_CYCLE_1) | instskip(SKIP_3) | instid1(VALU_DEP_1)
	v_mad_u64_u32 v[2:3], null, s15, s2, v[0:1]
	s_clause 0x1
	s_load_b128 s[12:15], s[0:1], 0x18
	s_load_b32 s2, s[0:1], 0x2c
	v_mul_hi_u32 v0, v2, s6
	s_delay_alu instid0(VALU_DEP_1) | instskip(NEXT) | instid1(VALU_DEP_1)
	v_add_nc_u32_e32 v0, v2, v0
	v_lshrrev_b32_e32 v1, s7, v0
	s_delay_alu instid0(VALU_DEP_1) | instskip(NEXT) | instid1(VALU_DEP_1)
	v_mul_lo_u32 v0, v1, s8
	v_sub_nc_u32_e32 v0, v2, v0
	s_delay_alu instid0(VALU_DEP_1) | instskip(NEXT) | instid1(VALU_DEP_1)
	v_mul_hi_u32 v2, v0, s9
	v_add_nc_u32_e32 v2, v0, v2
	s_delay_alu instid0(VALU_DEP_1) | instskip(NEXT) | instid1(VALU_DEP_1)
	v_lshrrev_b32_e32 v2, s10, v2
	v_mul_lo_u32 v3, v2, s11
	v_cmp_gt_u32_e64 s3, s4, v2
	v_cmp_gt_u32_e64 s4, s5, v1
	s_delay_alu instid0(VALU_DEP_3) | instskip(SKIP_1) | instid1(VALU_DEP_1)
	v_sub_nc_u32_e32 v0, v0, v3
	s_waitcnt lgkmcnt(0)
	v_mul_hi_u32 v3, v0, s12
	s_delay_alu instid0(VALU_DEP_1) | instskip(NEXT) | instid1(VALU_DEP_1)
	v_add_nc_u32_e32 v3, v0, v3
	v_lshrrev_b32_e32 v3, s13, v3
	s_delay_alu instid0(VALU_DEP_1) | instskip(SKIP_1) | instid1(VALU_DEP_2)
	v_mul_lo_u32 v4, v3, s14
	v_cmp_gt_u32_e64 s2, s2, v3
	v_sub_nc_u32_e32 v0, v0, v4
	s_delay_alu instid0(VALU_DEP_1) | instskip(NEXT) | instid1(VALU_DEP_3)
	v_cmp_gt_u32_e32 vcc_lo, s14, v0
	s_and_b32 s2, vcc_lo, s2
	s_delay_alu instid0(SALU_CYCLE_1) | instskip(NEXT) | instid1(SALU_CYCLE_1)
	s_and_b32 s2, s2, s3
	s_and_b32 s2, s4, s2
	s_delay_alu instid0(SALU_CYCLE_1)
	s_and_saveexec_b32 s3, s2
	s_cbranch_execz .LBB22_5
; %bb.1:
	s_clause 0x4
	s_load_b64 s[2:3], s[0:1], 0x0
	s_load_b128 s[20:23], s[0:1], 0xa8
	s_load_b256 s[4:11], s[0:1], 0x88
	s_load_b128 s[24:27], s[0:1], 0x78
	s_load_b256 s[12:19], s[0:1], 0x58
	s_waitcnt lgkmcnt(0)
	s_cmp_eq_u64 s[2:3], 0
	s_cbranch_scc1 .LBB22_3
; %bb.2:
	v_mul_lo_u32 v4, v1, s10
	v_mul_lo_u32 v6, v2, s9
	;; [unrolled: 1-line block ×3, first 2 shown]
	v_mov_b32_e32 v5, 0
	s_delay_alu instid0(VALU_DEP_2) | instskip(NEXT) | instid1(VALU_DEP_1)
	v_add3_u32 v4, v6, v4, v7
	v_lshlrev_b64 v[6:7], 1, v[4:5]
	v_mul_lo_u32 v4, v0, s7
	s_delay_alu instid0(VALU_DEP_2) | instskip(NEXT) | instid1(VALU_DEP_3)
	v_add_co_u32 v6, vcc_lo, s2, v6
	v_add_co_ci_u32_e32 v7, vcc_lo, s3, v7, vcc_lo
	s_delay_alu instid0(VALU_DEP_3) | instskip(NEXT) | instid1(VALU_DEP_1)
	v_lshlrev_b64 v[4:5], 1, v[4:5]
	v_add_co_u32 v4, vcc_lo, v6, v4
	s_delay_alu instid0(VALU_DEP_2)
	v_add_co_ci_u32_e32 v5, vcc_lo, v7, v5, vcc_lo
	global_load_u16 v4, v[4:5], off
	s_waitcnt vmcnt(0)
	v_cvt_f32_f16_e32 v4, v4
	s_branch .LBB22_4
.LBB22_3:
	v_mov_b32_e32 v4, 0
.LBB22_4:
	v_mul_hi_u32 v5, s25, v1
	v_mul_hi_u32 v6, s18, v2
	;; [unrolled: 1-line block ×4, first 2 shown]
	s_clause 0x1
	s_load_b64 s[2:3], s[0:1], 0xb8
	s_load_b64 s[0:1], s[0:1], 0x10
	s_delay_alu instid0(VALU_DEP_4) | instskip(NEXT) | instid1(VALU_DEP_4)
	v_add_nc_u32_e32 v5, v1, v5
	v_add_nc_u32_e32 v6, v2, v6
	s_delay_alu instid0(VALU_DEP_4) | instskip(NEXT) | instid1(VALU_DEP_4)
	v_add_nc_u32_e32 v7, v3, v7
	v_add_nc_u32_e32 v8, v0, v8
	s_delay_alu instid0(VALU_DEP_4) | instskip(NEXT) | instid1(VALU_DEP_4)
	v_lshrrev_b32_e32 v5, s26, v5
	v_lshrrev_b32_e32 v6, s19, v6
	s_delay_alu instid0(VALU_DEP_4) | instskip(NEXT) | instid1(VALU_DEP_4)
	v_lshrrev_b32_e32 v7, s16, v7
	v_lshrrev_b32_e32 v8, s13, v8
	s_delay_alu instid0(VALU_DEP_4) | instskip(NEXT) | instid1(VALU_DEP_4)
	v_mul_lo_u32 v5, v5, s27
	v_mul_lo_u32 v6, v6, s24
	s_delay_alu instid0(VALU_DEP_4) | instskip(NEXT) | instid1(VALU_DEP_4)
	v_mul_lo_u32 v7, v7, s17
	v_mul_lo_u32 v8, v8, s14
	s_delay_alu instid0(VALU_DEP_4) | instskip(NEXT) | instid1(VALU_DEP_4)
	v_sub_nc_u32_e32 v5, v1, v5
	v_sub_nc_u32_e32 v6, v2, v6
	s_delay_alu instid0(VALU_DEP_4) | instskip(NEXT) | instid1(VALU_DEP_4)
	v_sub_nc_u32_e32 v7, v3, v7
	v_sub_nc_u32_e32 v8, v0, v8
	v_mul_lo_u32 v1, v1, s6
	v_mul_lo_u32 v5, v5, s22
	;; [unrolled: 1-line block ×5, first 2 shown]
	s_delay_alu instid0(VALU_DEP_2) | instskip(SKIP_1) | instid1(VALU_DEP_2)
	v_add3_u32 v5, v6, v5, v7
	v_mul_lo_u32 v7, v8, s11
	v_ashrrev_i32_e32 v6, 31, v5
	s_delay_alu instid0(VALU_DEP_2) | instskip(NEXT) | instid1(VALU_DEP_2)
	v_ashrrev_i32_e32 v8, 31, v7
	v_lshlrev_b64 v[5:6], 2, v[5:6]
	s_delay_alu instid0(VALU_DEP_2) | instskip(SKIP_1) | instid1(VALU_DEP_2)
	v_lshlrev_b64 v[7:8], 2, v[7:8]
	s_waitcnt lgkmcnt(0)
	v_add_co_u32 v5, vcc_lo, s2, v5
	s_delay_alu instid0(VALU_DEP_3) | instskip(NEXT) | instid1(VALU_DEP_2)
	v_add_co_ci_u32_e32 v6, vcc_lo, s3, v6, vcc_lo
	v_add_co_u32 v5, vcc_lo, v5, v7
	s_delay_alu instid0(VALU_DEP_2) | instskip(SKIP_3) | instid1(VALU_DEP_2)
	v_add_co_ci_u32_e32 v6, vcc_lo, v6, v8, vcc_lo
	global_load_b32 v5, v[5:6], off
	v_mul_lo_u32 v6, v3, s4
	v_mov_b32_e32 v3, 0
	v_add3_u32 v2, v2, v1, v6
	s_delay_alu instid0(VALU_DEP_2) | instskip(NEXT) | instid1(VALU_DEP_2)
	v_mov_b32_e32 v1, v3
	v_lshlrev_b64 v[2:3], 2, v[2:3]
	s_delay_alu instid0(VALU_DEP_2) | instskip(NEXT) | instid1(VALU_DEP_2)
	v_lshlrev_b64 v[0:1], 2, v[0:1]
	v_add_co_u32 v2, vcc_lo, s0, v2
	s_delay_alu instid0(VALU_DEP_3) | instskip(NEXT) | instid1(VALU_DEP_2)
	v_add_co_ci_u32_e32 v3, vcc_lo, s1, v3, vcc_lo
	v_add_co_u32 v0, vcc_lo, v2, v0
	s_delay_alu instid0(VALU_DEP_2)
	v_add_co_ci_u32_e32 v1, vcc_lo, v3, v1, vcc_lo
	s_waitcnt vmcnt(0)
	v_sub_f32_e32 v4, v4, v5
	global_store_b32 v[0:1], v4, off
.LBB22_5:
	s_nop 0
	s_sendmsg sendmsg(MSG_DEALLOC_VGPRS)
	s_endpgm
	.section	.rodata,"a",@progbits
	.p2align	6, 0x0
	.amdhsa_kernel _ZL19k_bin_bcast_unravelIXadL_ZL6op_subffEE6__halfffJPKfEEvPKT0_PKT1_PT2_15HIP_vector_typeIjLj3EESC_SC_jSC_SC_SC_SC_SC_SC_iiiiiiiiiiiDpT3_
		.amdhsa_group_segment_fixed_size 0
		.amdhsa_private_segment_fixed_size 0
		.amdhsa_kernarg_size 448
		.amdhsa_user_sgpr_count 15
		.amdhsa_user_sgpr_dispatch_ptr 0
		.amdhsa_user_sgpr_queue_ptr 0
		.amdhsa_user_sgpr_kernarg_segment_ptr 1
		.amdhsa_user_sgpr_dispatch_id 0
		.amdhsa_user_sgpr_private_segment_size 0
		.amdhsa_wavefront_size32 1
		.amdhsa_uses_dynamic_stack 0
		.amdhsa_enable_private_segment 0
		.amdhsa_system_sgpr_workgroup_id_x 1
		.amdhsa_system_sgpr_workgroup_id_y 0
		.amdhsa_system_sgpr_workgroup_id_z 0
		.amdhsa_system_sgpr_workgroup_info 0
		.amdhsa_system_vgpr_workitem_id 0
		.amdhsa_next_free_vgpr 9
		.amdhsa_next_free_sgpr 28
		.amdhsa_reserve_vcc 1
		.amdhsa_float_round_mode_32 0
		.amdhsa_float_round_mode_16_64 0
		.amdhsa_float_denorm_mode_32 3
		.amdhsa_float_denorm_mode_16_64 3
		.amdhsa_dx10_clamp 1
		.amdhsa_ieee_mode 1
		.amdhsa_fp16_overflow 0
		.amdhsa_workgroup_processor_mode 1
		.amdhsa_memory_ordered 1
		.amdhsa_forward_progress 0
		.amdhsa_shared_vgpr_count 0
		.amdhsa_exception_fp_ieee_invalid_op 0
		.amdhsa_exception_fp_denorm_src 0
		.amdhsa_exception_fp_ieee_div_zero 0
		.amdhsa_exception_fp_ieee_overflow 0
		.amdhsa_exception_fp_ieee_underflow 0
		.amdhsa_exception_fp_ieee_inexact 0
		.amdhsa_exception_int_div_zero 0
	.end_amdhsa_kernel
	.section	.text._ZL19k_bin_bcast_unravelIXadL_ZL6op_subffEE6__halfffJPKfEEvPKT0_PKT1_PT2_15HIP_vector_typeIjLj3EESC_SC_jSC_SC_SC_SC_SC_SC_iiiiiiiiiiiDpT3_,"axG",@progbits,_ZL19k_bin_bcast_unravelIXadL_ZL6op_subffEE6__halfffJPKfEEvPKT0_PKT1_PT2_15HIP_vector_typeIjLj3EESC_SC_jSC_SC_SC_SC_SC_SC_iiiiiiiiiiiDpT3_,comdat
.Lfunc_end22:
	.size	_ZL19k_bin_bcast_unravelIXadL_ZL6op_subffEE6__halfffJPKfEEvPKT0_PKT1_PT2_15HIP_vector_typeIjLj3EESC_SC_jSC_SC_SC_SC_SC_SC_iiiiiiiiiiiDpT3_, .Lfunc_end22-_ZL19k_bin_bcast_unravelIXadL_ZL6op_subffEE6__halfffJPKfEEvPKT0_PKT1_PT2_15HIP_vector_typeIjLj3EESC_SC_jSC_SC_SC_SC_SC_SC_iiiiiiiiiiiDpT3_
                                        ; -- End function
	.section	.AMDGPU.csdata,"",@progbits
; Kernel info:
; codeLenInByte = 828
; NumSgprs: 30
; NumVgprs: 9
; ScratchSize: 0
; MemoryBound: 0
; FloatMode: 240
; IeeeMode: 1
; LDSByteSize: 0 bytes/workgroup (compile time only)
; SGPRBlocks: 3
; VGPRBlocks: 1
; NumSGPRsForWavesPerEU: 30
; NumVGPRsForWavesPerEU: 9
; Occupancy: 16
; WaveLimiterHint : 1
; COMPUTE_PGM_RSRC2:SCRATCH_EN: 0
; COMPUTE_PGM_RSRC2:USER_SGPR: 15
; COMPUTE_PGM_RSRC2:TRAP_HANDLER: 0
; COMPUTE_PGM_RSRC2:TGID_X_EN: 1
; COMPUTE_PGM_RSRC2:TGID_Y_EN: 0
; COMPUTE_PGM_RSRC2:TGID_Z_EN: 0
; COMPUTE_PGM_RSRC2:TIDIG_COMP_CNT: 0
	.section	.text._ZL11k_bin_bcastIXadL_ZL6op_subffEE6__halfffJPKfEEvPKT0_PKT1_PT2_iii15HIP_vector_typeIjLj3EESC_SC_SC_SC_iiiiiiiiiiiDpT3_,"axG",@progbits,_ZL11k_bin_bcastIXadL_ZL6op_subffEE6__halfffJPKfEEvPKT0_PKT1_PT2_iii15HIP_vector_typeIjLj3EESC_SC_SC_SC_iiiiiiiiiiiDpT3_,comdat
	.globl	_ZL11k_bin_bcastIXadL_ZL6op_subffEE6__halfffJPKfEEvPKT0_PKT1_PT2_iii15HIP_vector_typeIjLj3EESC_SC_SC_SC_iiiiiiiiiiiDpT3_ ; -- Begin function _ZL11k_bin_bcastIXadL_ZL6op_subffEE6__halfffJPKfEEvPKT0_PKT1_PT2_iii15HIP_vector_typeIjLj3EESC_SC_SC_SC_iiiiiiiiiiiDpT3_
	.p2align	8
	.type	_ZL11k_bin_bcastIXadL_ZL6op_subffEE6__halfffJPKfEEvPKT0_PKT1_PT2_iii15HIP_vector_typeIjLj3EESC_SC_SC_SC_iiiiiiiiiiiDpT3_,@function
_ZL11k_bin_bcastIXadL_ZL6op_subffEE6__halfffJPKfEEvPKT0_PKT1_PT2_iii15HIP_vector_typeIjLj3EESC_SC_SC_SC_iiiiiiiiiiiDpT3_: ; @_ZL11k_bin_bcastIXadL_ZL6op_subffEE6__halfffJPKfEEvPKT0_PKT1_PT2_iii15HIP_vector_typeIjLj3EESC_SC_SC_SC_iiiiiiiiiiiDpT3_
; %bb.0:
	s_clause 0x1
	s_load_b64 s[2:3], s[0:1], 0xa4
	s_load_b256 s[16:23], s[0:1], 0x18
	v_bfe_u32 v1, v0, 20, 10
	s_add_u32 s24, s0, 0x98
	s_addc_u32 s25, s1, 0
	v_bfe_u32 v6, v0, 10, 10
	s_waitcnt lgkmcnt(0)
	s_and_b32 s3, s3, 0xffff
	s_and_b32 s12, s2, 0xffff
	v_mad_u64_u32 v[2:3], null, s15, s3, v[1:2]
	v_and_b32_e32 v3, 0x3ff, v0
	s_lshr_b32 s3, s2, 16
	s_delay_alu instid0(VALU_DEP_2) | instskip(NEXT) | instid1(VALU_DEP_1)
	v_mul_hi_u32 v1, v2, s19
	v_add_nc_u32_e32 v1, v2, v1
	s_delay_alu instid0(VALU_DEP_1) | instskip(SKIP_2) | instid1(VALU_DEP_3)
	v_lshrrev_b32_e32 v5, s20, v1
	v_mad_u64_u32 v[0:1], null, s13, s12, v[3:4]
	v_mad_u64_u32 v[3:4], null, s14, s3, v[6:7]
	v_mul_lo_u32 v1, v5, s21
	v_cmp_gt_u32_e64 s3, s18, v5
	s_delay_alu instid0(VALU_DEP_4) | instskip(NEXT) | instid1(VALU_DEP_4)
	v_cmp_gt_u32_e32 vcc_lo, s16, v0
	v_cmp_gt_u32_e64 s2, s17, v3
	s_delay_alu instid0(VALU_DEP_4) | instskip(NEXT) | instid1(VALU_DEP_2)
	v_sub_nc_u32_e32 v4, v2, v1
	s_and_b32 s2, vcc_lo, s2
	s_delay_alu instid0(SALU_CYCLE_1) | instskip(NEXT) | instid1(VALU_DEP_1)
	s_and_b32 s2, s2, s3
	v_cmp_gt_u32_e64 s4, s21, v4
	s_delay_alu instid0(VALU_DEP_1) | instskip(NEXT) | instid1(SALU_CYCLE_1)
	s_and_b32 s2, s2, s4
	s_and_saveexec_b32 s3, s2
	s_cbranch_execz .LBB23_6
; %bb.1:
	v_cmp_gt_i32_e32 vcc_lo, s16, v0
	s_and_b32 exec_lo, exec_lo, vcc_lo
	s_cbranch_execz .LBB23_6
; %bb.2:
	s_clause 0x2
	s_load_b256 s[36:43], s[0:1], 0x3c
	s_load_b256 s[4:11], s[0:1], 0x60
	s_load_b32 s13, s[0:1], 0x5c
	s_load_b32 s17, s[24:25], 0x0
	s_clause 0x4
	s_load_b128 s[24:27], s[0:1], 0x80
	s_load_b64 s[2:3], s[0:1], 0x0
	s_load_b32 s18, s[0:1], 0x38
	s_load_b64 s[14:15], s[0:1], 0x10
	s_load_b64 s[0:1], s[0:1], 0x90
	s_waitcnt lgkmcnt(0)
	v_mul_hi_u32 v1, s39, v5
	v_mov_b32_e32 v2, 0
	v_mul_hi_u32 v6, s42, v4
	v_mul_hi_u32 v7, s36, v3
	v_mul_lo_u32 v8, v4, s10
	v_mul_lo_u32 v9, v5, s9
	;; [unrolled: 1-line block ×4, first 2 shown]
	v_add_nc_u32_e32 v1, v5, v1
	v_mul_lo_u32 v12, v4, s6
	v_add_nc_u32_e32 v6, v4, v6
	v_add_nc_u32_e32 v7, v3, v7
	v_mul_lo_u32 v14, v3, s4
	v_lshrrev_b32_e32 v1, s40, v1
	s_cmp_lg_u64 s[2:3], 0
	s_delay_alu instid0(VALU_DEP_3) | instskip(NEXT) | instid1(VALU_DEP_2)
	v_lshrrev_b32_e32 v7, s37, v7
	v_mul_lo_u32 v11, v1, s41
	v_add3_u32 v1, v9, v10, v8
	s_delay_alu instid0(VALU_DEP_3) | instskip(NEXT) | instid1(VALU_DEP_3)
	v_mul_lo_u32 v7, v7, s38
	v_sub_nc_u32_e32 v8, v5, v11
	v_mov_b32_e32 v5, v2
	v_lshrrev_b32_e32 v6, s43, v6
	s_delay_alu instid0(VALU_DEP_4) | instskip(NEXT) | instid1(VALU_DEP_2)
	v_sub_nc_u32_e32 v3, v3, v7
	v_mul_lo_u32 v6, v6, s13
	s_delay_alu instid0(VALU_DEP_2) | instskip(SKIP_1) | instid1(VALU_DEP_3)
	v_mul_lo_u32 v9, v3, s24
	v_mul_lo_u32 v3, s7, v0
	v_sub_nc_u32_e32 v4, v4, v6
	v_lshlrev_b64 v[6:7], 1, v[1:2]
	v_mul_lo_u32 v1, v8, s25
	s_delay_alu instid0(VALU_DEP_3) | instskip(SKIP_1) | instid1(VALU_DEP_4)
	v_mul_lo_u32 v8, v4, s26
	v_add3_u32 v4, v13, v14, v12
	v_add_co_u32 v10, vcc_lo, s2, v6
	v_add_co_ci_u32_e32 v6, vcc_lo, s3, v7, vcc_lo
	s_cselect_b32 vcc_lo, -1, 0
	s_mul_i32 s2, s17, s12
	s_delay_alu instid0(VALU_DEP_4) | instskip(NEXT) | instid1(VALU_DEP_2)
	v_add3_u32 v1, v1, v8, v9
	v_cndmask_b32_e32 v6, 0, v6, vcc_lo
	v_lshlrev_b64 v[7:8], 2, v[4:5]
	v_cndmask_b32_e32 v5, 0, v10, vcc_lo
	s_mov_b32 s3, 0
	v_lshlrev_b64 v[9:10], 2, v[1:2]
	s_mul_i32 s4, s2, s7
	s_sub_i32 s5, 0, s18
	v_add_co_u32 v7, vcc_lo, s14, v7
	v_add_co_ci_u32_e32 v8, vcc_lo, s15, v8, vcc_lo
	s_delay_alu instid0(VALU_DEP_3)
	v_add_co_u32 v9, s0, s0, v9
	v_cmp_ne_u64_e32 vcc_lo, 0, v[5:6]
	v_add_co_ci_u32_e64 v10, s0, s1, v10, s0
	s_set_inst_prefetch_distance 0x1
	s_branch .LBB23_4
	.p2align	6
.LBB23_3:                               ;   in Loop: Header=BB23_4 Depth=1
	s_or_b32 exec_lo, exec_lo, s1
	v_mul_hi_u32 v1, s22, v0
	v_add_nc_u32_e32 v3, s4, v3
	s_delay_alu instid0(VALU_DEP_2) | instskip(NEXT) | instid1(VALU_DEP_1)
	v_add_nc_u32_e32 v1, v0, v1
	v_lshrrev_b32_e32 v1, s23, v1
	s_delay_alu instid0(VALU_DEP_1) | instskip(NEXT) | instid1(VALU_DEP_1)
	v_mad_u64_u32 v[11:12], null, s5, v1, v[0:1]
	v_mul_lo_u32 v1, v11, s11
	s_delay_alu instid0(VALU_DEP_1) | instskip(SKIP_1) | instid1(VALU_DEP_2)
	v_lshlrev_b64 v[11:12], 2, v[1:2]
	v_ashrrev_i32_e32 v1, 31, v0
	v_add_co_u32 v11, s0, v9, v11
	s_delay_alu instid0(VALU_DEP_1) | instskip(SKIP_3) | instid1(VALU_DEP_2)
	v_add_co_ci_u32_e64 v12, s0, v10, v12, s0
	global_load_b32 v13, v[11:12], off
	v_lshlrev_b64 v[11:12], 2, v[0:1]
	v_add_nc_u32_e32 v0, s2, v0
	v_add_co_u32 v11, s1, v7, v11
	s_delay_alu instid0(VALU_DEP_1)
	v_add_co_ci_u32_e64 v12, s1, v8, v12, s1
	s_waitcnt vmcnt(0)
	v_sub_f32_e32 v1, v4, v13
	v_cmp_le_i32_e64 s0, s16, v0
	global_store_b32 v[11:12], v1, off
	s_or_b32 s3, s0, s3
	s_delay_alu instid0(SALU_CYCLE_1)
	s_and_not1_b32 exec_lo, exec_lo, s3
	s_cbranch_execz .LBB23_6
.LBB23_4:                               ; =>This Inner Loop Header: Depth=1
	v_mov_b32_e32 v4, 0
	s_and_saveexec_b32 s1, vcc_lo
	s_cbranch_execz .LBB23_3
; %bb.5:                                ;   in Loop: Header=BB23_4 Depth=1
	v_ashrrev_i32_e32 v4, 31, v3
	s_delay_alu instid0(VALU_DEP_1) | instskip(NEXT) | instid1(VALU_DEP_1)
	v_lshlrev_b64 v[11:12], 1, v[3:4]
	v_add_co_u32 v11, s0, v5, v11
	s_delay_alu instid0(VALU_DEP_1)
	v_add_co_ci_u32_e64 v12, s0, v6, v12, s0
	global_load_u16 v1, v[11:12], off
	s_waitcnt vmcnt(0)
	v_cvt_f32_f16_e32 v4, v1
	s_branch .LBB23_3
.LBB23_6:
	s_set_inst_prefetch_distance 0x2
	s_nop 0
	s_sendmsg sendmsg(MSG_DEALLOC_VGPRS)
	s_endpgm
	.section	.rodata,"a",@progbits
	.p2align	6, 0x0
	.amdhsa_kernel _ZL11k_bin_bcastIXadL_ZL6op_subffEE6__halfffJPKfEEvPKT0_PKT1_PT2_iii15HIP_vector_typeIjLj3EESC_SC_SC_SC_iiiiiiiiiiiDpT3_
		.amdhsa_group_segment_fixed_size 0
		.amdhsa_private_segment_fixed_size 0
		.amdhsa_kernarg_size 408
		.amdhsa_user_sgpr_count 13
		.amdhsa_user_sgpr_dispatch_ptr 0
		.amdhsa_user_sgpr_queue_ptr 0
		.amdhsa_user_sgpr_kernarg_segment_ptr 1
		.amdhsa_user_sgpr_dispatch_id 0
		.amdhsa_user_sgpr_private_segment_size 0
		.amdhsa_wavefront_size32 1
		.amdhsa_uses_dynamic_stack 0
		.amdhsa_enable_private_segment 0
		.amdhsa_system_sgpr_workgroup_id_x 1
		.amdhsa_system_sgpr_workgroup_id_y 1
		.amdhsa_system_sgpr_workgroup_id_z 1
		.amdhsa_system_sgpr_workgroup_info 0
		.amdhsa_system_vgpr_workitem_id 2
		.amdhsa_next_free_vgpr 15
		.amdhsa_next_free_sgpr 44
		.amdhsa_reserve_vcc 1
		.amdhsa_float_round_mode_32 0
		.amdhsa_float_round_mode_16_64 0
		.amdhsa_float_denorm_mode_32 3
		.amdhsa_float_denorm_mode_16_64 3
		.amdhsa_dx10_clamp 1
		.amdhsa_ieee_mode 1
		.amdhsa_fp16_overflow 0
		.amdhsa_workgroup_processor_mode 1
		.amdhsa_memory_ordered 1
		.amdhsa_forward_progress 0
		.amdhsa_shared_vgpr_count 0
		.amdhsa_exception_fp_ieee_invalid_op 0
		.amdhsa_exception_fp_denorm_src 0
		.amdhsa_exception_fp_ieee_div_zero 0
		.amdhsa_exception_fp_ieee_overflow 0
		.amdhsa_exception_fp_ieee_underflow 0
		.amdhsa_exception_fp_ieee_inexact 0
		.amdhsa_exception_int_div_zero 0
	.end_amdhsa_kernel
	.section	.text._ZL11k_bin_bcastIXadL_ZL6op_subffEE6__halfffJPKfEEvPKT0_PKT1_PT2_iii15HIP_vector_typeIjLj3EESC_SC_SC_SC_iiiiiiiiiiiDpT3_,"axG",@progbits,_ZL11k_bin_bcastIXadL_ZL6op_subffEE6__halfffJPKfEEvPKT0_PKT1_PT2_iii15HIP_vector_typeIjLj3EESC_SC_SC_SC_iiiiiiiiiiiDpT3_,comdat
.Lfunc_end23:
	.size	_ZL11k_bin_bcastIXadL_ZL6op_subffEE6__halfffJPKfEEvPKT0_PKT1_PT2_iii15HIP_vector_typeIjLj3EESC_SC_SC_SC_iiiiiiiiiiiDpT3_, .Lfunc_end23-_ZL11k_bin_bcastIXadL_ZL6op_subffEE6__halfffJPKfEEvPKT0_PKT1_PT2_iii15HIP_vector_typeIjLj3EESC_SC_SC_SC_iiiiiiiiiiiDpT3_
                                        ; -- End function
	.section	.AMDGPU.csdata,"",@progbits
; Kernel info:
; codeLenInByte = 880
; NumSgprs: 46
; NumVgprs: 15
; ScratchSize: 0
; MemoryBound: 0
; FloatMode: 240
; IeeeMode: 1
; LDSByteSize: 0 bytes/workgroup (compile time only)
; SGPRBlocks: 5
; VGPRBlocks: 1
; NumSGPRsForWavesPerEU: 46
; NumVGPRsForWavesPerEU: 15
; Occupancy: 16
; WaveLimiterHint : 1
; COMPUTE_PGM_RSRC2:SCRATCH_EN: 0
; COMPUTE_PGM_RSRC2:USER_SGPR: 13
; COMPUTE_PGM_RSRC2:TRAP_HANDLER: 0
; COMPUTE_PGM_RSRC2:TGID_X_EN: 1
; COMPUTE_PGM_RSRC2:TGID_Y_EN: 1
; COMPUTE_PGM_RSRC2:TGID_Z_EN: 1
; COMPUTE_PGM_RSRC2:TIDIG_COMP_CNT: 2
	.section	.text._ZL19k_bin_bcast_unravelIXadL_ZL6op_mulffEEfffJPKfEEvPKT0_PKT1_PT2_15HIP_vector_typeIjLj3EESB_SB_jSB_SB_SB_SB_SB_SB_iiiiiiiiiiiDpT3_,"axG",@progbits,_ZL19k_bin_bcast_unravelIXadL_ZL6op_mulffEEfffJPKfEEvPKT0_PKT1_PT2_15HIP_vector_typeIjLj3EESB_SB_jSB_SB_SB_SB_SB_SB_iiiiiiiiiiiDpT3_,comdat
	.globl	_ZL19k_bin_bcast_unravelIXadL_ZL6op_mulffEEfffJPKfEEvPKT0_PKT1_PT2_15HIP_vector_typeIjLj3EESB_SB_jSB_SB_SB_SB_SB_SB_iiiiiiiiiiiDpT3_ ; -- Begin function _ZL19k_bin_bcast_unravelIXadL_ZL6op_mulffEEfffJPKfEEvPKT0_PKT1_PT2_15HIP_vector_typeIjLj3EESB_SB_jSB_SB_SB_SB_SB_SB_iiiiiiiiiiiDpT3_
	.p2align	8
	.type	_ZL19k_bin_bcast_unravelIXadL_ZL6op_mulffEEfffJPKfEEvPKT0_PKT1_PT2_15HIP_vector_typeIjLj3EESB_SB_jSB_SB_SB_SB_SB_SB_iiiiiiiiiiiDpT3_,@function
_ZL19k_bin_bcast_unravelIXadL_ZL6op_mulffEEfffJPKfEEvPKT0_PKT1_PT2_15HIP_vector_typeIjLj3EESB_SB_jSB_SB_SB_SB_SB_SB_iiiiiiiiiiiDpT3_: ; @_ZL19k_bin_bcast_unravelIXadL_ZL6op_mulffEEfffJPKfEEvPKT0_PKT1_PT2_15HIP_vector_typeIjLj3EESB_SB_jSB_SB_SB_SB_SB_SB_iiiiiiiiiiiDpT3_
; %bb.0:
	s_clause 0x1
	s_load_b32 s2, s[0:1], 0xcc
	s_load_b256 s[4:11], s[0:1], 0x38
	s_waitcnt lgkmcnt(0)
	s_and_b32 s2, s2, 0xffff
	s_delay_alu instid0(SALU_CYCLE_1) | instskip(SKIP_3) | instid1(VALU_DEP_1)
	v_mad_u64_u32 v[2:3], null, s15, s2, v[0:1]
	s_clause 0x1
	s_load_b128 s[12:15], s[0:1], 0x18
	s_load_b32 s2, s[0:1], 0x2c
	v_mul_hi_u32 v0, v2, s6
	s_delay_alu instid0(VALU_DEP_1) | instskip(NEXT) | instid1(VALU_DEP_1)
	v_add_nc_u32_e32 v0, v2, v0
	v_lshrrev_b32_e32 v1, s7, v0
	s_delay_alu instid0(VALU_DEP_1) | instskip(NEXT) | instid1(VALU_DEP_1)
	v_mul_lo_u32 v0, v1, s8
	v_sub_nc_u32_e32 v0, v2, v0
	s_delay_alu instid0(VALU_DEP_1) | instskip(NEXT) | instid1(VALU_DEP_1)
	v_mul_hi_u32 v2, v0, s9
	v_add_nc_u32_e32 v2, v0, v2
	s_delay_alu instid0(VALU_DEP_1) | instskip(NEXT) | instid1(VALU_DEP_1)
	v_lshrrev_b32_e32 v2, s10, v2
	v_mul_lo_u32 v3, v2, s11
	v_cmp_gt_u32_e64 s3, s4, v2
	v_cmp_gt_u32_e64 s4, s5, v1
	s_delay_alu instid0(VALU_DEP_3) | instskip(SKIP_1) | instid1(VALU_DEP_1)
	v_sub_nc_u32_e32 v0, v0, v3
	s_waitcnt lgkmcnt(0)
	v_mul_hi_u32 v3, v0, s12
	s_delay_alu instid0(VALU_DEP_1) | instskip(NEXT) | instid1(VALU_DEP_1)
	v_add_nc_u32_e32 v3, v0, v3
	v_lshrrev_b32_e32 v3, s13, v3
	s_delay_alu instid0(VALU_DEP_1) | instskip(SKIP_1) | instid1(VALU_DEP_2)
	v_mul_lo_u32 v4, v3, s14
	v_cmp_gt_u32_e64 s2, s2, v3
	v_sub_nc_u32_e32 v0, v0, v4
	s_delay_alu instid0(VALU_DEP_1) | instskip(NEXT) | instid1(VALU_DEP_3)
	v_cmp_gt_u32_e32 vcc_lo, s14, v0
	s_and_b32 s2, vcc_lo, s2
	s_delay_alu instid0(SALU_CYCLE_1) | instskip(NEXT) | instid1(SALU_CYCLE_1)
	s_and_b32 s2, s2, s3
	s_and_b32 s2, s4, s2
	s_delay_alu instid0(SALU_CYCLE_1)
	s_and_saveexec_b32 s3, s2
	s_cbranch_execz .LBB24_5
; %bb.1:
	s_clause 0x4
	s_load_b64 s[2:3], s[0:1], 0x0
	s_load_b128 s[20:23], s[0:1], 0xa8
	s_load_b256 s[4:11], s[0:1], 0x88
	s_load_b128 s[24:27], s[0:1], 0x78
	s_load_b256 s[12:19], s[0:1], 0x58
	s_waitcnt lgkmcnt(0)
	s_cmp_eq_u64 s[2:3], 0
	s_cbranch_scc1 .LBB24_3
; %bb.2:
	v_mul_lo_u32 v4, v1, s10
	v_mul_lo_u32 v6, v2, s9
	;; [unrolled: 1-line block ×3, first 2 shown]
	v_mov_b32_e32 v5, 0
	s_delay_alu instid0(VALU_DEP_2) | instskip(NEXT) | instid1(VALU_DEP_1)
	v_add3_u32 v4, v6, v4, v7
	v_lshlrev_b64 v[6:7], 2, v[4:5]
	v_mul_lo_u32 v4, v0, s7
	s_delay_alu instid0(VALU_DEP_2) | instskip(NEXT) | instid1(VALU_DEP_3)
	v_add_co_u32 v6, vcc_lo, s2, v6
	v_add_co_ci_u32_e32 v7, vcc_lo, s3, v7, vcc_lo
	s_delay_alu instid0(VALU_DEP_3) | instskip(NEXT) | instid1(VALU_DEP_1)
	v_lshlrev_b64 v[4:5], 2, v[4:5]
	v_add_co_u32 v4, vcc_lo, v6, v4
	s_delay_alu instid0(VALU_DEP_2)
	v_add_co_ci_u32_e32 v5, vcc_lo, v7, v5, vcc_lo
	global_load_b32 v4, v[4:5], off
	s_branch .LBB24_4
.LBB24_3:
	v_mov_b32_e32 v4, 0
.LBB24_4:
	v_mul_hi_u32 v5, s25, v1
	v_mul_hi_u32 v6, s18, v2
	;; [unrolled: 1-line block ×4, first 2 shown]
	s_clause 0x1
	s_load_b64 s[2:3], s[0:1], 0xb8
	s_load_b64 s[0:1], s[0:1], 0x10
	s_delay_alu instid0(VALU_DEP_4) | instskip(NEXT) | instid1(VALU_DEP_4)
	v_add_nc_u32_e32 v5, v1, v5
	v_add_nc_u32_e32 v6, v2, v6
	s_delay_alu instid0(VALU_DEP_4) | instskip(NEXT) | instid1(VALU_DEP_4)
	v_add_nc_u32_e32 v7, v3, v7
	v_add_nc_u32_e32 v8, v0, v8
	s_delay_alu instid0(VALU_DEP_4) | instskip(NEXT) | instid1(VALU_DEP_4)
	v_lshrrev_b32_e32 v5, s26, v5
	v_lshrrev_b32_e32 v6, s19, v6
	s_delay_alu instid0(VALU_DEP_4) | instskip(NEXT) | instid1(VALU_DEP_4)
	v_lshrrev_b32_e32 v7, s16, v7
	v_lshrrev_b32_e32 v8, s13, v8
	s_delay_alu instid0(VALU_DEP_4) | instskip(NEXT) | instid1(VALU_DEP_4)
	v_mul_lo_u32 v5, v5, s27
	v_mul_lo_u32 v6, v6, s24
	s_delay_alu instid0(VALU_DEP_4) | instskip(NEXT) | instid1(VALU_DEP_4)
	v_mul_lo_u32 v7, v7, s17
	v_mul_lo_u32 v8, v8, s14
	s_delay_alu instid0(VALU_DEP_4) | instskip(NEXT) | instid1(VALU_DEP_4)
	v_sub_nc_u32_e32 v5, v1, v5
	v_sub_nc_u32_e32 v6, v2, v6
	s_delay_alu instid0(VALU_DEP_4) | instskip(NEXT) | instid1(VALU_DEP_4)
	v_sub_nc_u32_e32 v7, v3, v7
	v_sub_nc_u32_e32 v8, v0, v8
	v_mul_lo_u32 v1, v1, s6
	v_mul_lo_u32 v5, v5, s22
	;; [unrolled: 1-line block ×5, first 2 shown]
	s_delay_alu instid0(VALU_DEP_2) | instskip(SKIP_1) | instid1(VALU_DEP_2)
	v_add3_u32 v5, v6, v5, v7
	v_mul_lo_u32 v7, v8, s11
	v_ashrrev_i32_e32 v6, 31, v5
	s_delay_alu instid0(VALU_DEP_2) | instskip(NEXT) | instid1(VALU_DEP_2)
	v_ashrrev_i32_e32 v8, 31, v7
	v_lshlrev_b64 v[5:6], 2, v[5:6]
	s_delay_alu instid0(VALU_DEP_2) | instskip(SKIP_1) | instid1(VALU_DEP_2)
	v_lshlrev_b64 v[7:8], 2, v[7:8]
	s_waitcnt lgkmcnt(0)
	v_add_co_u32 v5, vcc_lo, s2, v5
	s_delay_alu instid0(VALU_DEP_3) | instskip(NEXT) | instid1(VALU_DEP_2)
	v_add_co_ci_u32_e32 v6, vcc_lo, s3, v6, vcc_lo
	v_add_co_u32 v5, vcc_lo, v5, v7
	s_delay_alu instid0(VALU_DEP_2) | instskip(SKIP_3) | instid1(VALU_DEP_2)
	v_add_co_ci_u32_e32 v6, vcc_lo, v6, v8, vcc_lo
	global_load_b32 v5, v[5:6], off
	v_mul_lo_u32 v6, v3, s4
	v_mov_b32_e32 v3, 0
	v_add3_u32 v2, v2, v1, v6
	s_delay_alu instid0(VALU_DEP_2) | instskip(NEXT) | instid1(VALU_DEP_2)
	v_mov_b32_e32 v1, v3
	v_lshlrev_b64 v[2:3], 2, v[2:3]
	s_delay_alu instid0(VALU_DEP_2) | instskip(NEXT) | instid1(VALU_DEP_2)
	v_lshlrev_b64 v[0:1], 2, v[0:1]
	v_add_co_u32 v2, vcc_lo, s0, v2
	s_delay_alu instid0(VALU_DEP_3) | instskip(NEXT) | instid1(VALU_DEP_2)
	v_add_co_ci_u32_e32 v3, vcc_lo, s1, v3, vcc_lo
	v_add_co_u32 v0, vcc_lo, v2, v0
	s_delay_alu instid0(VALU_DEP_2)
	v_add_co_ci_u32_e32 v1, vcc_lo, v3, v1, vcc_lo
	s_waitcnt vmcnt(0)
	v_mul_f32_e32 v4, v4, v5
	global_store_b32 v[0:1], v4, off
.LBB24_5:
	s_nop 0
	s_sendmsg sendmsg(MSG_DEALLOC_VGPRS)
	s_endpgm
	.section	.rodata,"a",@progbits
	.p2align	6, 0x0
	.amdhsa_kernel _ZL19k_bin_bcast_unravelIXadL_ZL6op_mulffEEfffJPKfEEvPKT0_PKT1_PT2_15HIP_vector_typeIjLj3EESB_SB_jSB_SB_SB_SB_SB_SB_iiiiiiiiiiiDpT3_
		.amdhsa_group_segment_fixed_size 0
		.amdhsa_private_segment_fixed_size 0
		.amdhsa_kernarg_size 448
		.amdhsa_user_sgpr_count 15
		.amdhsa_user_sgpr_dispatch_ptr 0
		.amdhsa_user_sgpr_queue_ptr 0
		.amdhsa_user_sgpr_kernarg_segment_ptr 1
		.amdhsa_user_sgpr_dispatch_id 0
		.amdhsa_user_sgpr_private_segment_size 0
		.amdhsa_wavefront_size32 1
		.amdhsa_uses_dynamic_stack 0
		.amdhsa_enable_private_segment 0
		.amdhsa_system_sgpr_workgroup_id_x 1
		.amdhsa_system_sgpr_workgroup_id_y 0
		.amdhsa_system_sgpr_workgroup_id_z 0
		.amdhsa_system_sgpr_workgroup_info 0
		.amdhsa_system_vgpr_workitem_id 0
		.amdhsa_next_free_vgpr 9
		.amdhsa_next_free_sgpr 28
		.amdhsa_reserve_vcc 1
		.amdhsa_float_round_mode_32 0
		.amdhsa_float_round_mode_16_64 0
		.amdhsa_float_denorm_mode_32 3
		.amdhsa_float_denorm_mode_16_64 3
		.amdhsa_dx10_clamp 1
		.amdhsa_ieee_mode 1
		.amdhsa_fp16_overflow 0
		.amdhsa_workgroup_processor_mode 1
		.amdhsa_memory_ordered 1
		.amdhsa_forward_progress 0
		.amdhsa_shared_vgpr_count 0
		.amdhsa_exception_fp_ieee_invalid_op 0
		.amdhsa_exception_fp_denorm_src 0
		.amdhsa_exception_fp_ieee_div_zero 0
		.amdhsa_exception_fp_ieee_overflow 0
		.amdhsa_exception_fp_ieee_underflow 0
		.amdhsa_exception_fp_ieee_inexact 0
		.amdhsa_exception_int_div_zero 0
	.end_amdhsa_kernel
	.section	.text._ZL19k_bin_bcast_unravelIXadL_ZL6op_mulffEEfffJPKfEEvPKT0_PKT1_PT2_15HIP_vector_typeIjLj3EESB_SB_jSB_SB_SB_SB_SB_SB_iiiiiiiiiiiDpT3_,"axG",@progbits,_ZL19k_bin_bcast_unravelIXadL_ZL6op_mulffEEfffJPKfEEvPKT0_PKT1_PT2_15HIP_vector_typeIjLj3EESB_SB_jSB_SB_SB_SB_SB_SB_iiiiiiiiiiiDpT3_,comdat
.Lfunc_end24:
	.size	_ZL19k_bin_bcast_unravelIXadL_ZL6op_mulffEEfffJPKfEEvPKT0_PKT1_PT2_15HIP_vector_typeIjLj3EESB_SB_jSB_SB_SB_SB_SB_SB_iiiiiiiiiiiDpT3_, .Lfunc_end24-_ZL19k_bin_bcast_unravelIXadL_ZL6op_mulffEEfffJPKfEEvPKT0_PKT1_PT2_15HIP_vector_typeIjLj3EESB_SB_jSB_SB_SB_SB_SB_SB_iiiiiiiiiiiDpT3_
                                        ; -- End function
	.section	.AMDGPU.csdata,"",@progbits
; Kernel info:
; codeLenInByte = 820
; NumSgprs: 30
; NumVgprs: 9
; ScratchSize: 0
; MemoryBound: 0
; FloatMode: 240
; IeeeMode: 1
; LDSByteSize: 0 bytes/workgroup (compile time only)
; SGPRBlocks: 3
; VGPRBlocks: 1
; NumSGPRsForWavesPerEU: 30
; NumVGPRsForWavesPerEU: 9
; Occupancy: 16
; WaveLimiterHint : 1
; COMPUTE_PGM_RSRC2:SCRATCH_EN: 0
; COMPUTE_PGM_RSRC2:USER_SGPR: 15
; COMPUTE_PGM_RSRC2:TRAP_HANDLER: 0
; COMPUTE_PGM_RSRC2:TGID_X_EN: 1
; COMPUTE_PGM_RSRC2:TGID_Y_EN: 0
; COMPUTE_PGM_RSRC2:TGID_Z_EN: 0
; COMPUTE_PGM_RSRC2:TIDIG_COMP_CNT: 0
	.section	.text._ZL11k_bin_bcastIXadL_ZL6op_mulffEEfffJPKfEEvPKT0_PKT1_PT2_iii15HIP_vector_typeIjLj3EESB_SB_SB_SB_iiiiiiiiiiiDpT3_,"axG",@progbits,_ZL11k_bin_bcastIXadL_ZL6op_mulffEEfffJPKfEEvPKT0_PKT1_PT2_iii15HIP_vector_typeIjLj3EESB_SB_SB_SB_iiiiiiiiiiiDpT3_,comdat
	.globl	_ZL11k_bin_bcastIXadL_ZL6op_mulffEEfffJPKfEEvPKT0_PKT1_PT2_iii15HIP_vector_typeIjLj3EESB_SB_SB_SB_iiiiiiiiiiiDpT3_ ; -- Begin function _ZL11k_bin_bcastIXadL_ZL6op_mulffEEfffJPKfEEvPKT0_PKT1_PT2_iii15HIP_vector_typeIjLj3EESB_SB_SB_SB_iiiiiiiiiiiDpT3_
	.p2align	8
	.type	_ZL11k_bin_bcastIXadL_ZL6op_mulffEEfffJPKfEEvPKT0_PKT1_PT2_iii15HIP_vector_typeIjLj3EESB_SB_SB_SB_iiiiiiiiiiiDpT3_,@function
_ZL11k_bin_bcastIXadL_ZL6op_mulffEEfffJPKfEEvPKT0_PKT1_PT2_iii15HIP_vector_typeIjLj3EESB_SB_SB_SB_iiiiiiiiiiiDpT3_: ; @_ZL11k_bin_bcastIXadL_ZL6op_mulffEEfffJPKfEEvPKT0_PKT1_PT2_iii15HIP_vector_typeIjLj3EESB_SB_SB_SB_iiiiiiiiiiiDpT3_
; %bb.0:
	s_clause 0x1
	s_load_b64 s[2:3], s[0:1], 0xa4
	s_load_b256 s[16:23], s[0:1], 0x18
	v_bfe_u32 v1, v0, 20, 10
	s_add_u32 s24, s0, 0x98
	s_addc_u32 s25, s1, 0
	v_bfe_u32 v6, v0, 10, 10
	s_waitcnt lgkmcnt(0)
	s_and_b32 s3, s3, 0xffff
	s_and_b32 s12, s2, 0xffff
	v_mad_u64_u32 v[2:3], null, s15, s3, v[1:2]
	v_and_b32_e32 v3, 0x3ff, v0
	s_lshr_b32 s3, s2, 16
	s_delay_alu instid0(VALU_DEP_2) | instskip(NEXT) | instid1(VALU_DEP_1)
	v_mul_hi_u32 v1, v2, s19
	v_add_nc_u32_e32 v1, v2, v1
	s_delay_alu instid0(VALU_DEP_1) | instskip(SKIP_2) | instid1(VALU_DEP_3)
	v_lshrrev_b32_e32 v5, s20, v1
	v_mad_u64_u32 v[0:1], null, s13, s12, v[3:4]
	v_mad_u64_u32 v[3:4], null, s14, s3, v[6:7]
	v_mul_lo_u32 v1, v5, s21
	v_cmp_gt_u32_e64 s3, s18, v5
	s_delay_alu instid0(VALU_DEP_4) | instskip(NEXT) | instid1(VALU_DEP_4)
	v_cmp_gt_u32_e32 vcc_lo, s16, v0
	v_cmp_gt_u32_e64 s2, s17, v3
	s_delay_alu instid0(VALU_DEP_4) | instskip(NEXT) | instid1(VALU_DEP_2)
	v_sub_nc_u32_e32 v4, v2, v1
	s_and_b32 s2, vcc_lo, s2
	s_delay_alu instid0(SALU_CYCLE_1) | instskip(NEXT) | instid1(VALU_DEP_1)
	s_and_b32 s2, s2, s3
	v_cmp_gt_u32_e64 s4, s21, v4
	s_delay_alu instid0(VALU_DEP_1) | instskip(NEXT) | instid1(SALU_CYCLE_1)
	s_and_b32 s2, s2, s4
	s_and_saveexec_b32 s3, s2
	s_cbranch_execz .LBB25_6
; %bb.1:
	v_cmp_gt_i32_e32 vcc_lo, s16, v0
	s_and_b32 exec_lo, exec_lo, vcc_lo
	s_cbranch_execz .LBB25_6
; %bb.2:
	s_clause 0x2
	s_load_b256 s[36:43], s[0:1], 0x3c
	s_load_b256 s[4:11], s[0:1], 0x60
	s_load_b32 s13, s[0:1], 0x5c
	s_load_b32 s17, s[24:25], 0x0
	s_clause 0x4
	s_load_b128 s[24:27], s[0:1], 0x80
	s_load_b64 s[2:3], s[0:1], 0x0
	s_load_b32 s18, s[0:1], 0x38
	s_load_b64 s[14:15], s[0:1], 0x10
	s_load_b64 s[0:1], s[0:1], 0x90
	s_waitcnt lgkmcnt(0)
	v_mul_hi_u32 v1, s39, v5
	v_mov_b32_e32 v2, 0
	v_mul_hi_u32 v6, s42, v4
	v_mul_hi_u32 v7, s36, v3
	v_mul_lo_u32 v8, v4, s10
	v_mul_lo_u32 v9, v5, s9
	v_mul_lo_u32 v10, v3, s8
	v_mul_lo_u32 v13, v5, s5
	v_add_nc_u32_e32 v1, v5, v1
	v_mul_lo_u32 v12, v4, s6
	v_add_nc_u32_e32 v6, v4, v6
	v_add_nc_u32_e32 v7, v3, v7
	v_mul_lo_u32 v14, v3, s4
	v_lshrrev_b32_e32 v1, s40, v1
	s_cmp_lg_u64 s[2:3], 0
	s_delay_alu instid0(VALU_DEP_3) | instskip(NEXT) | instid1(VALU_DEP_2)
	v_lshrrev_b32_e32 v7, s37, v7
	v_mul_lo_u32 v11, v1, s41
	v_add3_u32 v1, v9, v10, v8
	s_delay_alu instid0(VALU_DEP_3) | instskip(NEXT) | instid1(VALU_DEP_3)
	v_mul_lo_u32 v7, v7, s38
	v_sub_nc_u32_e32 v8, v5, v11
	v_mov_b32_e32 v5, v2
	v_lshrrev_b32_e32 v6, s43, v6
	s_delay_alu instid0(VALU_DEP_4) | instskip(NEXT) | instid1(VALU_DEP_2)
	v_sub_nc_u32_e32 v3, v3, v7
	v_mul_lo_u32 v6, v6, s13
	s_delay_alu instid0(VALU_DEP_2) | instskip(SKIP_1) | instid1(VALU_DEP_3)
	v_mul_lo_u32 v9, v3, s24
	v_mul_lo_u32 v3, s7, v0
	v_sub_nc_u32_e32 v4, v4, v6
	v_lshlrev_b64 v[6:7], 2, v[1:2]
	v_mul_lo_u32 v1, v8, s25
	s_delay_alu instid0(VALU_DEP_3) | instskip(SKIP_1) | instid1(VALU_DEP_4)
	v_mul_lo_u32 v8, v4, s26
	v_add3_u32 v4, v13, v14, v12
	v_add_co_u32 v10, vcc_lo, s2, v6
	v_add_co_ci_u32_e32 v6, vcc_lo, s3, v7, vcc_lo
	s_cselect_b32 vcc_lo, -1, 0
	s_mul_i32 s2, s17, s12
	s_delay_alu instid0(VALU_DEP_4) | instskip(NEXT) | instid1(VALU_DEP_2)
	v_add3_u32 v1, v1, v8, v9
	v_cndmask_b32_e32 v6, 0, v6, vcc_lo
	v_lshlrev_b64 v[7:8], 2, v[4:5]
	v_cndmask_b32_e32 v5, 0, v10, vcc_lo
	s_mov_b32 s3, 0
	v_lshlrev_b64 v[9:10], 2, v[1:2]
	s_mul_i32 s4, s2, s7
	s_sub_i32 s5, 0, s18
	v_add_co_u32 v7, vcc_lo, s14, v7
	v_add_co_ci_u32_e32 v8, vcc_lo, s15, v8, vcc_lo
	s_delay_alu instid0(VALU_DEP_3)
	v_add_co_u32 v9, s0, s0, v9
	v_cmp_ne_u64_e32 vcc_lo, 0, v[5:6]
	v_add_co_ci_u32_e64 v10, s0, s1, v10, s0
	s_set_inst_prefetch_distance 0x1
	s_branch .LBB25_4
	.p2align	6
.LBB25_3:                               ;   in Loop: Header=BB25_4 Depth=1
	s_or_b32 exec_lo, exec_lo, s1
	v_mul_hi_u32 v1, s22, v0
	v_add_nc_u32_e32 v3, s4, v3
	s_delay_alu instid0(VALU_DEP_2) | instskip(NEXT) | instid1(VALU_DEP_1)
	v_add_nc_u32_e32 v1, v0, v1
	v_lshrrev_b32_e32 v1, s23, v1
	s_delay_alu instid0(VALU_DEP_1) | instskip(NEXT) | instid1(VALU_DEP_1)
	v_mad_u64_u32 v[11:12], null, s5, v1, v[0:1]
	v_mul_lo_u32 v1, v11, s11
	s_delay_alu instid0(VALU_DEP_1) | instskip(SKIP_1) | instid1(VALU_DEP_2)
	v_lshlrev_b64 v[11:12], 2, v[1:2]
	v_ashrrev_i32_e32 v1, 31, v0
	v_add_co_u32 v11, s0, v9, v11
	s_delay_alu instid0(VALU_DEP_1) | instskip(SKIP_3) | instid1(VALU_DEP_2)
	v_add_co_ci_u32_e64 v12, s0, v10, v12, s0
	global_load_b32 v13, v[11:12], off
	v_lshlrev_b64 v[11:12], 2, v[0:1]
	v_add_nc_u32_e32 v0, s2, v0
	v_add_co_u32 v11, s1, v7, v11
	s_delay_alu instid0(VALU_DEP_1)
	v_add_co_ci_u32_e64 v12, s1, v8, v12, s1
	s_waitcnt vmcnt(0)
	v_mul_f32_e32 v1, v4, v13
	v_cmp_le_i32_e64 s0, s16, v0
	global_store_b32 v[11:12], v1, off
	s_or_b32 s3, s0, s3
	s_delay_alu instid0(SALU_CYCLE_1)
	s_and_not1_b32 exec_lo, exec_lo, s3
	s_cbranch_execz .LBB25_6
.LBB25_4:                               ; =>This Inner Loop Header: Depth=1
	v_mov_b32_e32 v4, 0
	s_and_saveexec_b32 s1, vcc_lo
	s_cbranch_execz .LBB25_3
; %bb.5:                                ;   in Loop: Header=BB25_4 Depth=1
	v_ashrrev_i32_e32 v4, 31, v3
	s_delay_alu instid0(VALU_DEP_1) | instskip(NEXT) | instid1(VALU_DEP_1)
	v_lshlrev_b64 v[11:12], 2, v[3:4]
	v_add_co_u32 v11, s0, v5, v11
	s_delay_alu instid0(VALU_DEP_1)
	v_add_co_ci_u32_e64 v12, s0, v6, v12, s0
	global_load_b32 v4, v[11:12], off
	s_branch .LBB25_3
.LBB25_6:
	s_set_inst_prefetch_distance 0x2
	s_nop 0
	s_sendmsg sendmsg(MSG_DEALLOC_VGPRS)
	s_endpgm
	.section	.rodata,"a",@progbits
	.p2align	6, 0x0
	.amdhsa_kernel _ZL11k_bin_bcastIXadL_ZL6op_mulffEEfffJPKfEEvPKT0_PKT1_PT2_iii15HIP_vector_typeIjLj3EESB_SB_SB_SB_iiiiiiiiiiiDpT3_
		.amdhsa_group_segment_fixed_size 0
		.amdhsa_private_segment_fixed_size 0
		.amdhsa_kernarg_size 408
		.amdhsa_user_sgpr_count 13
		.amdhsa_user_sgpr_dispatch_ptr 0
		.amdhsa_user_sgpr_queue_ptr 0
		.amdhsa_user_sgpr_kernarg_segment_ptr 1
		.amdhsa_user_sgpr_dispatch_id 0
		.amdhsa_user_sgpr_private_segment_size 0
		.amdhsa_wavefront_size32 1
		.amdhsa_uses_dynamic_stack 0
		.amdhsa_enable_private_segment 0
		.amdhsa_system_sgpr_workgroup_id_x 1
		.amdhsa_system_sgpr_workgroup_id_y 1
		.amdhsa_system_sgpr_workgroup_id_z 1
		.amdhsa_system_sgpr_workgroup_info 0
		.amdhsa_system_vgpr_workitem_id 2
		.amdhsa_next_free_vgpr 15
		.amdhsa_next_free_sgpr 44
		.amdhsa_reserve_vcc 1
		.amdhsa_float_round_mode_32 0
		.amdhsa_float_round_mode_16_64 0
		.amdhsa_float_denorm_mode_32 3
		.amdhsa_float_denorm_mode_16_64 3
		.amdhsa_dx10_clamp 1
		.amdhsa_ieee_mode 1
		.amdhsa_fp16_overflow 0
		.amdhsa_workgroup_processor_mode 1
		.amdhsa_memory_ordered 1
		.amdhsa_forward_progress 0
		.amdhsa_shared_vgpr_count 0
		.amdhsa_exception_fp_ieee_invalid_op 0
		.amdhsa_exception_fp_denorm_src 0
		.amdhsa_exception_fp_ieee_div_zero 0
		.amdhsa_exception_fp_ieee_overflow 0
		.amdhsa_exception_fp_ieee_underflow 0
		.amdhsa_exception_fp_ieee_inexact 0
		.amdhsa_exception_int_div_zero 0
	.end_amdhsa_kernel
	.section	.text._ZL11k_bin_bcastIXadL_ZL6op_mulffEEfffJPKfEEvPKT0_PKT1_PT2_iii15HIP_vector_typeIjLj3EESB_SB_SB_SB_iiiiiiiiiiiDpT3_,"axG",@progbits,_ZL11k_bin_bcastIXadL_ZL6op_mulffEEfffJPKfEEvPKT0_PKT1_PT2_iii15HIP_vector_typeIjLj3EESB_SB_SB_SB_iiiiiiiiiiiDpT3_,comdat
.Lfunc_end25:
	.size	_ZL11k_bin_bcastIXadL_ZL6op_mulffEEfffJPKfEEvPKT0_PKT1_PT2_iii15HIP_vector_typeIjLj3EESB_SB_SB_SB_iiiiiiiiiiiDpT3_, .Lfunc_end25-_ZL11k_bin_bcastIXadL_ZL6op_mulffEEfffJPKfEEvPKT0_PKT1_PT2_iii15HIP_vector_typeIjLj3EESB_SB_SB_SB_iiiiiiiiiiiDpT3_
                                        ; -- End function
	.section	.AMDGPU.csdata,"",@progbits
; Kernel info:
; codeLenInByte = 872
; NumSgprs: 46
; NumVgprs: 15
; ScratchSize: 0
; MemoryBound: 0
; FloatMode: 240
; IeeeMode: 1
; LDSByteSize: 0 bytes/workgroup (compile time only)
; SGPRBlocks: 5
; VGPRBlocks: 1
; NumSGPRsForWavesPerEU: 46
; NumVGPRsForWavesPerEU: 15
; Occupancy: 16
; WaveLimiterHint : 1
; COMPUTE_PGM_RSRC2:SCRATCH_EN: 0
; COMPUTE_PGM_RSRC2:USER_SGPR: 13
; COMPUTE_PGM_RSRC2:TRAP_HANDLER: 0
; COMPUTE_PGM_RSRC2:TGID_X_EN: 1
; COMPUTE_PGM_RSRC2:TGID_Y_EN: 1
; COMPUTE_PGM_RSRC2:TGID_Z_EN: 1
; COMPUTE_PGM_RSRC2:TIDIG_COMP_CNT: 2
	.section	.text._ZL19k_bin_bcast_unravelIXadL_ZL6op_mulffEE6__halfS0_S0_JPKS0_EEvPKT0_PKT1_PT2_15HIP_vector_typeIjLj3EESC_SC_jSC_SC_SC_SC_SC_SC_iiiiiiiiiiiDpT3_,"axG",@progbits,_ZL19k_bin_bcast_unravelIXadL_ZL6op_mulffEE6__halfS0_S0_JPKS0_EEvPKT0_PKT1_PT2_15HIP_vector_typeIjLj3EESC_SC_jSC_SC_SC_SC_SC_SC_iiiiiiiiiiiDpT3_,comdat
	.globl	_ZL19k_bin_bcast_unravelIXadL_ZL6op_mulffEE6__halfS0_S0_JPKS0_EEvPKT0_PKT1_PT2_15HIP_vector_typeIjLj3EESC_SC_jSC_SC_SC_SC_SC_SC_iiiiiiiiiiiDpT3_ ; -- Begin function _ZL19k_bin_bcast_unravelIXadL_ZL6op_mulffEE6__halfS0_S0_JPKS0_EEvPKT0_PKT1_PT2_15HIP_vector_typeIjLj3EESC_SC_jSC_SC_SC_SC_SC_SC_iiiiiiiiiiiDpT3_
	.p2align	8
	.type	_ZL19k_bin_bcast_unravelIXadL_ZL6op_mulffEE6__halfS0_S0_JPKS0_EEvPKT0_PKT1_PT2_15HIP_vector_typeIjLj3EESC_SC_jSC_SC_SC_SC_SC_SC_iiiiiiiiiiiDpT3_,@function
_ZL19k_bin_bcast_unravelIXadL_ZL6op_mulffEE6__halfS0_S0_JPKS0_EEvPKT0_PKT1_PT2_15HIP_vector_typeIjLj3EESC_SC_jSC_SC_SC_SC_SC_SC_iiiiiiiiiiiDpT3_: ; @_ZL19k_bin_bcast_unravelIXadL_ZL6op_mulffEE6__halfS0_S0_JPKS0_EEvPKT0_PKT1_PT2_15HIP_vector_typeIjLj3EESC_SC_jSC_SC_SC_SC_SC_SC_iiiiiiiiiiiDpT3_
; %bb.0:
	s_clause 0x1
	s_load_b32 s2, s[0:1], 0xcc
	s_load_b256 s[4:11], s[0:1], 0x38
	s_waitcnt lgkmcnt(0)
	s_and_b32 s2, s2, 0xffff
	s_delay_alu instid0(SALU_CYCLE_1) | instskip(SKIP_3) | instid1(VALU_DEP_1)
	v_mad_u64_u32 v[2:3], null, s15, s2, v[0:1]
	s_clause 0x1
	s_load_b128 s[12:15], s[0:1], 0x18
	s_load_b32 s2, s[0:1], 0x2c
	v_mul_hi_u32 v0, v2, s6
	s_delay_alu instid0(VALU_DEP_1) | instskip(NEXT) | instid1(VALU_DEP_1)
	v_add_nc_u32_e32 v0, v2, v0
	v_lshrrev_b32_e32 v1, s7, v0
	s_delay_alu instid0(VALU_DEP_1) | instskip(NEXT) | instid1(VALU_DEP_1)
	v_mul_lo_u32 v0, v1, s8
	v_sub_nc_u32_e32 v0, v2, v0
	s_delay_alu instid0(VALU_DEP_1) | instskip(NEXT) | instid1(VALU_DEP_1)
	v_mul_hi_u32 v2, v0, s9
	v_add_nc_u32_e32 v2, v0, v2
	s_delay_alu instid0(VALU_DEP_1) | instskip(NEXT) | instid1(VALU_DEP_1)
	v_lshrrev_b32_e32 v2, s10, v2
	v_mul_lo_u32 v3, v2, s11
	v_cmp_gt_u32_e64 s3, s4, v2
	v_cmp_gt_u32_e64 s4, s5, v1
	s_delay_alu instid0(VALU_DEP_3) | instskip(SKIP_1) | instid1(VALU_DEP_1)
	v_sub_nc_u32_e32 v0, v0, v3
	s_waitcnt lgkmcnt(0)
	v_mul_hi_u32 v3, v0, s12
	s_delay_alu instid0(VALU_DEP_1) | instskip(NEXT) | instid1(VALU_DEP_1)
	v_add_nc_u32_e32 v3, v0, v3
	v_lshrrev_b32_e32 v3, s13, v3
	s_delay_alu instid0(VALU_DEP_1) | instskip(SKIP_1) | instid1(VALU_DEP_2)
	v_mul_lo_u32 v4, v3, s14
	v_cmp_gt_u32_e64 s2, s2, v3
	v_sub_nc_u32_e32 v0, v0, v4
	s_delay_alu instid0(VALU_DEP_1) | instskip(NEXT) | instid1(VALU_DEP_3)
	v_cmp_gt_u32_e32 vcc_lo, s14, v0
	s_and_b32 s2, vcc_lo, s2
	s_delay_alu instid0(SALU_CYCLE_1) | instskip(NEXT) | instid1(SALU_CYCLE_1)
	s_and_b32 s2, s2, s3
	s_and_b32 s2, s4, s2
	s_delay_alu instid0(SALU_CYCLE_1)
	s_and_saveexec_b32 s3, s2
	s_cbranch_execz .LBB26_5
; %bb.1:
	s_clause 0x4
	s_load_b64 s[2:3], s[0:1], 0x0
	s_load_b128 s[20:23], s[0:1], 0xa8
	s_load_b256 s[4:11], s[0:1], 0x88
	s_load_b128 s[24:27], s[0:1], 0x78
	s_load_b256 s[12:19], s[0:1], 0x58
	s_waitcnt lgkmcnt(0)
	s_cmp_eq_u64 s[2:3], 0
	s_cbranch_scc1 .LBB26_3
; %bb.2:
	v_mul_lo_u32 v4, v1, s10
	v_mul_lo_u32 v6, v2, s9
	;; [unrolled: 1-line block ×3, first 2 shown]
	v_mov_b32_e32 v5, 0
	s_delay_alu instid0(VALU_DEP_2) | instskip(NEXT) | instid1(VALU_DEP_1)
	v_add3_u32 v4, v6, v4, v7
	v_lshlrev_b64 v[6:7], 1, v[4:5]
	v_mul_lo_u32 v4, v0, s7
	s_delay_alu instid0(VALU_DEP_2) | instskip(NEXT) | instid1(VALU_DEP_3)
	v_add_co_u32 v6, vcc_lo, s2, v6
	v_add_co_ci_u32_e32 v7, vcc_lo, s3, v7, vcc_lo
	s_delay_alu instid0(VALU_DEP_3) | instskip(NEXT) | instid1(VALU_DEP_1)
	v_lshlrev_b64 v[4:5], 1, v[4:5]
	v_add_co_u32 v4, vcc_lo, v6, v4
	s_delay_alu instid0(VALU_DEP_2)
	v_add_co_ci_u32_e32 v5, vcc_lo, v7, v5, vcc_lo
	global_load_u16 v4, v[4:5], off
	s_waitcnt vmcnt(0)
	v_cvt_f32_f16_e32 v4, v4
	s_branch .LBB26_4
.LBB26_3:
	v_mov_b32_e32 v4, 0
.LBB26_4:
	v_mul_hi_u32 v5, s25, v1
	v_mul_hi_u32 v6, s18, v2
	;; [unrolled: 1-line block ×4, first 2 shown]
	s_clause 0x1
	s_load_b64 s[2:3], s[0:1], 0xb8
	s_load_b64 s[0:1], s[0:1], 0x10
	s_delay_alu instid0(VALU_DEP_4) | instskip(NEXT) | instid1(VALU_DEP_4)
	v_add_nc_u32_e32 v5, v1, v5
	v_add_nc_u32_e32 v6, v2, v6
	s_delay_alu instid0(VALU_DEP_4) | instskip(NEXT) | instid1(VALU_DEP_4)
	v_add_nc_u32_e32 v7, v3, v7
	v_add_nc_u32_e32 v8, v0, v8
	s_delay_alu instid0(VALU_DEP_4) | instskip(NEXT) | instid1(VALU_DEP_4)
	v_lshrrev_b32_e32 v5, s26, v5
	v_lshrrev_b32_e32 v6, s19, v6
	s_delay_alu instid0(VALU_DEP_4) | instskip(NEXT) | instid1(VALU_DEP_4)
	v_lshrrev_b32_e32 v7, s16, v7
	v_lshrrev_b32_e32 v8, s13, v8
	s_delay_alu instid0(VALU_DEP_4) | instskip(NEXT) | instid1(VALU_DEP_4)
	v_mul_lo_u32 v5, v5, s27
	v_mul_lo_u32 v6, v6, s24
	s_delay_alu instid0(VALU_DEP_4) | instskip(NEXT) | instid1(VALU_DEP_4)
	v_mul_lo_u32 v7, v7, s17
	v_mul_lo_u32 v8, v8, s14
	s_delay_alu instid0(VALU_DEP_4) | instskip(NEXT) | instid1(VALU_DEP_4)
	v_sub_nc_u32_e32 v5, v1, v5
	v_sub_nc_u32_e32 v6, v2, v6
	s_delay_alu instid0(VALU_DEP_4) | instskip(NEXT) | instid1(VALU_DEP_4)
	v_sub_nc_u32_e32 v7, v3, v7
	v_sub_nc_u32_e32 v8, v0, v8
	v_mul_lo_u32 v1, v1, s6
	v_mul_lo_u32 v5, v5, s22
	v_mul_lo_u32 v6, v6, s21
	v_mul_lo_u32 v7, v7, s20
	v_mul_lo_u32 v2, v2, s5
	s_delay_alu instid0(VALU_DEP_2) | instskip(SKIP_1) | instid1(VALU_DEP_2)
	v_add3_u32 v5, v6, v5, v7
	v_mul_lo_u32 v7, v8, s11
	v_ashrrev_i32_e32 v6, 31, v5
	s_delay_alu instid0(VALU_DEP_2) | instskip(NEXT) | instid1(VALU_DEP_2)
	v_ashrrev_i32_e32 v8, 31, v7
	v_lshlrev_b64 v[5:6], 1, v[5:6]
	s_delay_alu instid0(VALU_DEP_2) | instskip(SKIP_1) | instid1(VALU_DEP_2)
	v_lshlrev_b64 v[7:8], 1, v[7:8]
	s_waitcnt lgkmcnt(0)
	v_add_co_u32 v5, vcc_lo, s2, v5
	s_delay_alu instid0(VALU_DEP_3) | instskip(NEXT) | instid1(VALU_DEP_2)
	v_add_co_ci_u32_e32 v6, vcc_lo, s3, v6, vcc_lo
	v_add_co_u32 v5, vcc_lo, v5, v7
	s_delay_alu instid0(VALU_DEP_2) | instskip(SKIP_3) | instid1(VALU_DEP_2)
	v_add_co_ci_u32_e32 v6, vcc_lo, v6, v8, vcc_lo
	global_load_u16 v5, v[5:6], off
	v_mul_lo_u32 v6, v3, s4
	v_mov_b32_e32 v3, 0
	v_add3_u32 v2, v2, v1, v6
	s_delay_alu instid0(VALU_DEP_2) | instskip(NEXT) | instid1(VALU_DEP_2)
	v_mov_b32_e32 v1, v3
	v_lshlrev_b64 v[2:3], 1, v[2:3]
	s_delay_alu instid0(VALU_DEP_2) | instskip(NEXT) | instid1(VALU_DEP_2)
	v_lshlrev_b64 v[0:1], 1, v[0:1]
	v_add_co_u32 v2, vcc_lo, s0, v2
	s_delay_alu instid0(VALU_DEP_3) | instskip(NEXT) | instid1(VALU_DEP_2)
	v_add_co_ci_u32_e32 v3, vcc_lo, s1, v3, vcc_lo
	v_add_co_u32 v0, vcc_lo, v2, v0
	s_delay_alu instid0(VALU_DEP_2)
	v_add_co_ci_u32_e32 v1, vcc_lo, v3, v1, vcc_lo
	s_waitcnt vmcnt(0)
	v_fma_mixlo_f16 v4, v4, v5, 0 op_sel_hi:[0,1,0]
	global_store_b16 v[0:1], v4, off
.LBB26_5:
	s_nop 0
	s_sendmsg sendmsg(MSG_DEALLOC_VGPRS)
	s_endpgm
	.section	.rodata,"a",@progbits
	.p2align	6, 0x0
	.amdhsa_kernel _ZL19k_bin_bcast_unravelIXadL_ZL6op_mulffEE6__halfS0_S0_JPKS0_EEvPKT0_PKT1_PT2_15HIP_vector_typeIjLj3EESC_SC_jSC_SC_SC_SC_SC_SC_iiiiiiiiiiiDpT3_
		.amdhsa_group_segment_fixed_size 0
		.amdhsa_private_segment_fixed_size 0
		.amdhsa_kernarg_size 448
		.amdhsa_user_sgpr_count 15
		.amdhsa_user_sgpr_dispatch_ptr 0
		.amdhsa_user_sgpr_queue_ptr 0
		.amdhsa_user_sgpr_kernarg_segment_ptr 1
		.amdhsa_user_sgpr_dispatch_id 0
		.amdhsa_user_sgpr_private_segment_size 0
		.amdhsa_wavefront_size32 1
		.amdhsa_uses_dynamic_stack 0
		.amdhsa_enable_private_segment 0
		.amdhsa_system_sgpr_workgroup_id_x 1
		.amdhsa_system_sgpr_workgroup_id_y 0
		.amdhsa_system_sgpr_workgroup_id_z 0
		.amdhsa_system_sgpr_workgroup_info 0
		.amdhsa_system_vgpr_workitem_id 0
		.amdhsa_next_free_vgpr 9
		.amdhsa_next_free_sgpr 28
		.amdhsa_reserve_vcc 1
		.amdhsa_float_round_mode_32 0
		.amdhsa_float_round_mode_16_64 0
		.amdhsa_float_denorm_mode_32 3
		.amdhsa_float_denorm_mode_16_64 3
		.amdhsa_dx10_clamp 1
		.amdhsa_ieee_mode 1
		.amdhsa_fp16_overflow 0
		.amdhsa_workgroup_processor_mode 1
		.amdhsa_memory_ordered 1
		.amdhsa_forward_progress 0
		.amdhsa_shared_vgpr_count 0
		.amdhsa_exception_fp_ieee_invalid_op 0
		.amdhsa_exception_fp_denorm_src 0
		.amdhsa_exception_fp_ieee_div_zero 0
		.amdhsa_exception_fp_ieee_overflow 0
		.amdhsa_exception_fp_ieee_underflow 0
		.amdhsa_exception_fp_ieee_inexact 0
		.amdhsa_exception_int_div_zero 0
	.end_amdhsa_kernel
	.section	.text._ZL19k_bin_bcast_unravelIXadL_ZL6op_mulffEE6__halfS0_S0_JPKS0_EEvPKT0_PKT1_PT2_15HIP_vector_typeIjLj3EESC_SC_jSC_SC_SC_SC_SC_SC_iiiiiiiiiiiDpT3_,"axG",@progbits,_ZL19k_bin_bcast_unravelIXadL_ZL6op_mulffEE6__halfS0_S0_JPKS0_EEvPKT0_PKT1_PT2_15HIP_vector_typeIjLj3EESC_SC_jSC_SC_SC_SC_SC_SC_iiiiiiiiiiiDpT3_,comdat
.Lfunc_end26:
	.size	_ZL19k_bin_bcast_unravelIXadL_ZL6op_mulffEE6__halfS0_S0_JPKS0_EEvPKT0_PKT1_PT2_15HIP_vector_typeIjLj3EESC_SC_jSC_SC_SC_SC_SC_SC_iiiiiiiiiiiDpT3_, .Lfunc_end26-_ZL19k_bin_bcast_unravelIXadL_ZL6op_mulffEE6__halfS0_S0_JPKS0_EEvPKT0_PKT1_PT2_15HIP_vector_typeIjLj3EESC_SC_jSC_SC_SC_SC_SC_SC_iiiiiiiiiiiDpT3_
                                        ; -- End function
	.section	.AMDGPU.csdata,"",@progbits
; Kernel info:
; codeLenInByte = 832
; NumSgprs: 30
; NumVgprs: 9
; ScratchSize: 0
; MemoryBound: 0
; FloatMode: 240
; IeeeMode: 1
; LDSByteSize: 0 bytes/workgroup (compile time only)
; SGPRBlocks: 3
; VGPRBlocks: 1
; NumSGPRsForWavesPerEU: 30
; NumVGPRsForWavesPerEU: 9
; Occupancy: 16
; WaveLimiterHint : 1
; COMPUTE_PGM_RSRC2:SCRATCH_EN: 0
; COMPUTE_PGM_RSRC2:USER_SGPR: 15
; COMPUTE_PGM_RSRC2:TRAP_HANDLER: 0
; COMPUTE_PGM_RSRC2:TGID_X_EN: 1
; COMPUTE_PGM_RSRC2:TGID_Y_EN: 0
; COMPUTE_PGM_RSRC2:TGID_Z_EN: 0
; COMPUTE_PGM_RSRC2:TIDIG_COMP_CNT: 0
	.section	.text._ZL11k_bin_bcastIXadL_ZL6op_mulffEE6__halfS0_S0_JPKS0_EEvPKT0_PKT1_PT2_iii15HIP_vector_typeIjLj3EESC_SC_SC_SC_iiiiiiiiiiiDpT3_,"axG",@progbits,_ZL11k_bin_bcastIXadL_ZL6op_mulffEE6__halfS0_S0_JPKS0_EEvPKT0_PKT1_PT2_iii15HIP_vector_typeIjLj3EESC_SC_SC_SC_iiiiiiiiiiiDpT3_,comdat
	.globl	_ZL11k_bin_bcastIXadL_ZL6op_mulffEE6__halfS0_S0_JPKS0_EEvPKT0_PKT1_PT2_iii15HIP_vector_typeIjLj3EESC_SC_SC_SC_iiiiiiiiiiiDpT3_ ; -- Begin function _ZL11k_bin_bcastIXadL_ZL6op_mulffEE6__halfS0_S0_JPKS0_EEvPKT0_PKT1_PT2_iii15HIP_vector_typeIjLj3EESC_SC_SC_SC_iiiiiiiiiiiDpT3_
	.p2align	8
	.type	_ZL11k_bin_bcastIXadL_ZL6op_mulffEE6__halfS0_S0_JPKS0_EEvPKT0_PKT1_PT2_iii15HIP_vector_typeIjLj3EESC_SC_SC_SC_iiiiiiiiiiiDpT3_,@function
_ZL11k_bin_bcastIXadL_ZL6op_mulffEE6__halfS0_S0_JPKS0_EEvPKT0_PKT1_PT2_iii15HIP_vector_typeIjLj3EESC_SC_SC_SC_iiiiiiiiiiiDpT3_: ; @_ZL11k_bin_bcastIXadL_ZL6op_mulffEE6__halfS0_S0_JPKS0_EEvPKT0_PKT1_PT2_iii15HIP_vector_typeIjLj3EESC_SC_SC_SC_iiiiiiiiiiiDpT3_
; %bb.0:
	s_clause 0x1
	s_load_b64 s[2:3], s[0:1], 0xa4
	s_load_b256 s[16:23], s[0:1], 0x18
	v_bfe_u32 v1, v0, 20, 10
	s_add_u32 s24, s0, 0x98
	s_addc_u32 s25, s1, 0
	v_bfe_u32 v6, v0, 10, 10
	s_waitcnt lgkmcnt(0)
	s_and_b32 s3, s3, 0xffff
	s_and_b32 s12, s2, 0xffff
	v_mad_u64_u32 v[2:3], null, s15, s3, v[1:2]
	v_and_b32_e32 v3, 0x3ff, v0
	s_lshr_b32 s3, s2, 16
	s_delay_alu instid0(VALU_DEP_2) | instskip(NEXT) | instid1(VALU_DEP_1)
	v_mul_hi_u32 v1, v2, s19
	v_add_nc_u32_e32 v1, v2, v1
	s_delay_alu instid0(VALU_DEP_1) | instskip(SKIP_2) | instid1(VALU_DEP_3)
	v_lshrrev_b32_e32 v5, s20, v1
	v_mad_u64_u32 v[0:1], null, s13, s12, v[3:4]
	v_mad_u64_u32 v[3:4], null, s14, s3, v[6:7]
	v_mul_lo_u32 v1, v5, s21
	v_cmp_gt_u32_e64 s3, s18, v5
	s_delay_alu instid0(VALU_DEP_4) | instskip(NEXT) | instid1(VALU_DEP_4)
	v_cmp_gt_u32_e32 vcc_lo, s16, v0
	v_cmp_gt_u32_e64 s2, s17, v3
	s_delay_alu instid0(VALU_DEP_4) | instskip(NEXT) | instid1(VALU_DEP_2)
	v_sub_nc_u32_e32 v4, v2, v1
	s_and_b32 s2, vcc_lo, s2
	s_delay_alu instid0(SALU_CYCLE_1) | instskip(NEXT) | instid1(VALU_DEP_1)
	s_and_b32 s2, s2, s3
	v_cmp_gt_u32_e64 s4, s21, v4
	s_delay_alu instid0(VALU_DEP_1) | instskip(NEXT) | instid1(SALU_CYCLE_1)
	s_and_b32 s2, s2, s4
	s_and_saveexec_b32 s3, s2
	s_cbranch_execz .LBB27_6
; %bb.1:
	v_cmp_gt_i32_e32 vcc_lo, s16, v0
	s_and_b32 exec_lo, exec_lo, vcc_lo
	s_cbranch_execz .LBB27_6
; %bb.2:
	s_clause 0x2
	s_load_b256 s[36:43], s[0:1], 0x3c
	s_load_b256 s[4:11], s[0:1], 0x60
	s_load_b32 s13, s[0:1], 0x5c
	s_load_b32 s17, s[24:25], 0x0
	s_clause 0x4
	s_load_b128 s[24:27], s[0:1], 0x80
	s_load_b64 s[2:3], s[0:1], 0x0
	s_load_b32 s18, s[0:1], 0x38
	s_load_b64 s[14:15], s[0:1], 0x10
	s_load_b64 s[0:1], s[0:1], 0x90
	s_waitcnt lgkmcnt(0)
	v_mul_hi_u32 v1, s39, v5
	v_mov_b32_e32 v2, 0
	v_mul_hi_u32 v6, s42, v4
	v_mul_hi_u32 v7, s36, v3
	v_mul_lo_u32 v8, v4, s10
	v_mul_lo_u32 v9, v5, s9
	;; [unrolled: 1-line block ×4, first 2 shown]
	v_add_nc_u32_e32 v1, v5, v1
	v_mul_lo_u32 v12, v4, s6
	v_add_nc_u32_e32 v6, v4, v6
	v_add_nc_u32_e32 v7, v3, v7
	v_mul_lo_u32 v14, v3, s4
	v_lshrrev_b32_e32 v1, s40, v1
	s_cmp_lg_u64 s[2:3], 0
	s_delay_alu instid0(VALU_DEP_3) | instskip(NEXT) | instid1(VALU_DEP_2)
	v_lshrrev_b32_e32 v7, s37, v7
	v_mul_lo_u32 v11, v1, s41
	v_add3_u32 v1, v9, v10, v8
	s_delay_alu instid0(VALU_DEP_3) | instskip(NEXT) | instid1(VALU_DEP_3)
	v_mul_lo_u32 v7, v7, s38
	v_sub_nc_u32_e32 v8, v5, v11
	v_mov_b32_e32 v5, v2
	v_lshrrev_b32_e32 v6, s43, v6
	s_delay_alu instid0(VALU_DEP_4) | instskip(NEXT) | instid1(VALU_DEP_2)
	v_sub_nc_u32_e32 v3, v3, v7
	v_mul_lo_u32 v6, v6, s13
	s_delay_alu instid0(VALU_DEP_2) | instskip(SKIP_1) | instid1(VALU_DEP_3)
	v_mul_lo_u32 v9, v3, s24
	v_mul_lo_u32 v3, s7, v0
	v_sub_nc_u32_e32 v4, v4, v6
	v_lshlrev_b64 v[6:7], 1, v[1:2]
	v_mul_lo_u32 v1, v8, s25
	s_delay_alu instid0(VALU_DEP_3) | instskip(SKIP_1) | instid1(VALU_DEP_4)
	v_mul_lo_u32 v8, v4, s26
	v_add3_u32 v4, v13, v14, v12
	v_add_co_u32 v10, vcc_lo, s2, v6
	v_add_co_ci_u32_e32 v6, vcc_lo, s3, v7, vcc_lo
	s_cselect_b32 vcc_lo, -1, 0
	s_mul_i32 s2, s17, s12
	s_delay_alu instid0(VALU_DEP_4) | instskip(NEXT) | instid1(VALU_DEP_2)
	v_add3_u32 v1, v1, v8, v9
	v_cndmask_b32_e32 v6, 0, v6, vcc_lo
	v_lshlrev_b64 v[7:8], 1, v[4:5]
	v_cndmask_b32_e32 v5, 0, v10, vcc_lo
	s_mov_b32 s3, 0
	v_lshlrev_b64 v[9:10], 1, v[1:2]
	s_mul_i32 s4, s2, s7
	s_sub_i32 s5, 0, s18
	v_add_co_u32 v7, vcc_lo, s14, v7
	v_add_co_ci_u32_e32 v8, vcc_lo, s15, v8, vcc_lo
	s_delay_alu instid0(VALU_DEP_3)
	v_add_co_u32 v9, s0, s0, v9
	v_cmp_ne_u64_e32 vcc_lo, 0, v[5:6]
	v_add_co_ci_u32_e64 v10, s0, s1, v10, s0
	s_branch .LBB27_4
.LBB27_3:                               ;   in Loop: Header=BB27_4 Depth=1
	s_or_b32 exec_lo, exec_lo, s1
	v_mul_hi_u32 v1, s22, v0
	v_add_nc_u32_e32 v3, s4, v3
	s_delay_alu instid0(VALU_DEP_2) | instskip(NEXT) | instid1(VALU_DEP_1)
	v_add_nc_u32_e32 v1, v0, v1
	v_lshrrev_b32_e32 v1, s23, v1
	s_delay_alu instid0(VALU_DEP_1) | instskip(NEXT) | instid1(VALU_DEP_1)
	v_mad_u64_u32 v[11:12], null, s5, v1, v[0:1]
	v_mul_lo_u32 v1, v11, s11
	s_delay_alu instid0(VALU_DEP_1) | instskip(SKIP_1) | instid1(VALU_DEP_2)
	v_lshlrev_b64 v[11:12], 1, v[1:2]
	v_ashrrev_i32_e32 v1, 31, v0
	v_add_co_u32 v11, s0, v9, v11
	s_delay_alu instid0(VALU_DEP_1) | instskip(SKIP_3) | instid1(VALU_DEP_1)
	v_add_co_ci_u32_e64 v12, s0, v10, v12, s0
	global_load_u16 v13, v[11:12], off
	v_lshlrev_b64 v[11:12], 1, v[0:1]
	v_add_nc_u32_e32 v0, s2, v0
	v_cmp_le_i32_e64 s0, s16, v0
	s_delay_alu instid0(VALU_DEP_3) | instskip(NEXT) | instid1(VALU_DEP_1)
	v_add_co_u32 v11, s1, v7, v11
	v_add_co_ci_u32_e64 v12, s1, v8, v12, s1
	s_delay_alu instid0(VALU_DEP_3)
	s_or_b32 s3, s0, s3
	s_waitcnt vmcnt(0)
	v_fma_mixlo_f16 v1, v4, v13, 0 op_sel_hi:[0,1,0]
	global_store_b16 v[11:12], v1, off
	s_and_not1_b32 exec_lo, exec_lo, s3
	s_cbranch_execz .LBB27_6
.LBB27_4:                               ; =>This Inner Loop Header: Depth=1
	v_mov_b32_e32 v4, 0
	s_and_saveexec_b32 s1, vcc_lo
	s_cbranch_execz .LBB27_3
; %bb.5:                                ;   in Loop: Header=BB27_4 Depth=1
	v_ashrrev_i32_e32 v4, 31, v3
	s_delay_alu instid0(VALU_DEP_1) | instskip(NEXT) | instid1(VALU_DEP_1)
	v_lshlrev_b64 v[11:12], 1, v[3:4]
	v_add_co_u32 v11, s0, v5, v11
	s_delay_alu instid0(VALU_DEP_1)
	v_add_co_ci_u32_e64 v12, s0, v6, v12, s0
	global_load_u16 v1, v[11:12], off
	s_waitcnt vmcnt(0)
	v_cvt_f32_f16_e32 v4, v1
	s_branch .LBB27_3
.LBB27_6:
	s_nop 0
	s_sendmsg sendmsg(MSG_DEALLOC_VGPRS)
	s_endpgm
	.section	.rodata,"a",@progbits
	.p2align	6, 0x0
	.amdhsa_kernel _ZL11k_bin_bcastIXadL_ZL6op_mulffEE6__halfS0_S0_JPKS0_EEvPKT0_PKT1_PT2_iii15HIP_vector_typeIjLj3EESC_SC_SC_SC_iiiiiiiiiiiDpT3_
		.amdhsa_group_segment_fixed_size 0
		.amdhsa_private_segment_fixed_size 0
		.amdhsa_kernarg_size 408
		.amdhsa_user_sgpr_count 13
		.amdhsa_user_sgpr_dispatch_ptr 0
		.amdhsa_user_sgpr_queue_ptr 0
		.amdhsa_user_sgpr_kernarg_segment_ptr 1
		.amdhsa_user_sgpr_dispatch_id 0
		.amdhsa_user_sgpr_private_segment_size 0
		.amdhsa_wavefront_size32 1
		.amdhsa_uses_dynamic_stack 0
		.amdhsa_enable_private_segment 0
		.amdhsa_system_sgpr_workgroup_id_x 1
		.amdhsa_system_sgpr_workgroup_id_y 1
		.amdhsa_system_sgpr_workgroup_id_z 1
		.amdhsa_system_sgpr_workgroup_info 0
		.amdhsa_system_vgpr_workitem_id 2
		.amdhsa_next_free_vgpr 15
		.amdhsa_next_free_sgpr 44
		.amdhsa_reserve_vcc 1
		.amdhsa_float_round_mode_32 0
		.amdhsa_float_round_mode_16_64 0
		.amdhsa_float_denorm_mode_32 3
		.amdhsa_float_denorm_mode_16_64 3
		.amdhsa_dx10_clamp 1
		.amdhsa_ieee_mode 1
		.amdhsa_fp16_overflow 0
		.amdhsa_workgroup_processor_mode 1
		.amdhsa_memory_ordered 1
		.amdhsa_forward_progress 0
		.amdhsa_shared_vgpr_count 0
		.amdhsa_exception_fp_ieee_invalid_op 0
		.amdhsa_exception_fp_denorm_src 0
		.amdhsa_exception_fp_ieee_div_zero 0
		.amdhsa_exception_fp_ieee_overflow 0
		.amdhsa_exception_fp_ieee_underflow 0
		.amdhsa_exception_fp_ieee_inexact 0
		.amdhsa_exception_int_div_zero 0
	.end_amdhsa_kernel
	.section	.text._ZL11k_bin_bcastIXadL_ZL6op_mulffEE6__halfS0_S0_JPKS0_EEvPKT0_PKT1_PT2_iii15HIP_vector_typeIjLj3EESC_SC_SC_SC_iiiiiiiiiiiDpT3_,"axG",@progbits,_ZL11k_bin_bcastIXadL_ZL6op_mulffEE6__halfS0_S0_JPKS0_EEvPKT0_PKT1_PT2_iii15HIP_vector_typeIjLj3EESC_SC_SC_SC_iiiiiiiiiiiDpT3_,comdat
.Lfunc_end27:
	.size	_ZL11k_bin_bcastIXadL_ZL6op_mulffEE6__halfS0_S0_JPKS0_EEvPKT0_PKT1_PT2_iii15HIP_vector_typeIjLj3EESC_SC_SC_SC_iiiiiiiiiiiDpT3_, .Lfunc_end27-_ZL11k_bin_bcastIXadL_ZL6op_mulffEE6__halfS0_S0_JPKS0_EEvPKT0_PKT1_PT2_iii15HIP_vector_typeIjLj3EESC_SC_SC_SC_iiiiiiiiiiiDpT3_
                                        ; -- End function
	.section	.AMDGPU.csdata,"",@progbits
; Kernel info:
; codeLenInByte = 876
; NumSgprs: 46
; NumVgprs: 15
; ScratchSize: 0
; MemoryBound: 0
; FloatMode: 240
; IeeeMode: 1
; LDSByteSize: 0 bytes/workgroup (compile time only)
; SGPRBlocks: 5
; VGPRBlocks: 1
; NumSGPRsForWavesPerEU: 46
; NumVGPRsForWavesPerEU: 15
; Occupancy: 16
; WaveLimiterHint : 1
; COMPUTE_PGM_RSRC2:SCRATCH_EN: 0
; COMPUTE_PGM_RSRC2:USER_SGPR: 13
; COMPUTE_PGM_RSRC2:TRAP_HANDLER: 0
; COMPUTE_PGM_RSRC2:TGID_X_EN: 1
; COMPUTE_PGM_RSRC2:TGID_Y_EN: 1
; COMPUTE_PGM_RSRC2:TGID_Z_EN: 1
; COMPUTE_PGM_RSRC2:TIDIG_COMP_CNT: 2
	.section	.text._ZL19k_bin_bcast_unravelIXadL_ZL6op_mulffEE6__halffS0_JPKfEEvPKT0_PKT1_PT2_15HIP_vector_typeIjLj3EESC_SC_jSC_SC_SC_SC_SC_SC_iiiiiiiiiiiDpT3_,"axG",@progbits,_ZL19k_bin_bcast_unravelIXadL_ZL6op_mulffEE6__halffS0_JPKfEEvPKT0_PKT1_PT2_15HIP_vector_typeIjLj3EESC_SC_jSC_SC_SC_SC_SC_SC_iiiiiiiiiiiDpT3_,comdat
	.globl	_ZL19k_bin_bcast_unravelIXadL_ZL6op_mulffEE6__halffS0_JPKfEEvPKT0_PKT1_PT2_15HIP_vector_typeIjLj3EESC_SC_jSC_SC_SC_SC_SC_SC_iiiiiiiiiiiDpT3_ ; -- Begin function _ZL19k_bin_bcast_unravelIXadL_ZL6op_mulffEE6__halffS0_JPKfEEvPKT0_PKT1_PT2_15HIP_vector_typeIjLj3EESC_SC_jSC_SC_SC_SC_SC_SC_iiiiiiiiiiiDpT3_
	.p2align	8
	.type	_ZL19k_bin_bcast_unravelIXadL_ZL6op_mulffEE6__halffS0_JPKfEEvPKT0_PKT1_PT2_15HIP_vector_typeIjLj3EESC_SC_jSC_SC_SC_SC_SC_SC_iiiiiiiiiiiDpT3_,@function
_ZL19k_bin_bcast_unravelIXadL_ZL6op_mulffEE6__halffS0_JPKfEEvPKT0_PKT1_PT2_15HIP_vector_typeIjLj3EESC_SC_jSC_SC_SC_SC_SC_SC_iiiiiiiiiiiDpT3_: ; @_ZL19k_bin_bcast_unravelIXadL_ZL6op_mulffEE6__halffS0_JPKfEEvPKT0_PKT1_PT2_15HIP_vector_typeIjLj3EESC_SC_jSC_SC_SC_SC_SC_SC_iiiiiiiiiiiDpT3_
; %bb.0:
	s_clause 0x1
	s_load_b32 s2, s[0:1], 0xcc
	s_load_b256 s[4:11], s[0:1], 0x38
	s_waitcnt lgkmcnt(0)
	s_and_b32 s2, s2, 0xffff
	s_delay_alu instid0(SALU_CYCLE_1) | instskip(SKIP_3) | instid1(VALU_DEP_1)
	v_mad_u64_u32 v[2:3], null, s15, s2, v[0:1]
	s_clause 0x1
	s_load_b128 s[12:15], s[0:1], 0x18
	s_load_b32 s2, s[0:1], 0x2c
	v_mul_hi_u32 v0, v2, s6
	s_delay_alu instid0(VALU_DEP_1) | instskip(NEXT) | instid1(VALU_DEP_1)
	v_add_nc_u32_e32 v0, v2, v0
	v_lshrrev_b32_e32 v1, s7, v0
	s_delay_alu instid0(VALU_DEP_1) | instskip(NEXT) | instid1(VALU_DEP_1)
	v_mul_lo_u32 v0, v1, s8
	v_sub_nc_u32_e32 v0, v2, v0
	s_delay_alu instid0(VALU_DEP_1) | instskip(NEXT) | instid1(VALU_DEP_1)
	v_mul_hi_u32 v2, v0, s9
	v_add_nc_u32_e32 v2, v0, v2
	s_delay_alu instid0(VALU_DEP_1) | instskip(NEXT) | instid1(VALU_DEP_1)
	v_lshrrev_b32_e32 v2, s10, v2
	v_mul_lo_u32 v3, v2, s11
	v_cmp_gt_u32_e64 s3, s4, v2
	v_cmp_gt_u32_e64 s4, s5, v1
	s_delay_alu instid0(VALU_DEP_3) | instskip(SKIP_1) | instid1(VALU_DEP_1)
	v_sub_nc_u32_e32 v0, v0, v3
	s_waitcnt lgkmcnt(0)
	v_mul_hi_u32 v3, v0, s12
	s_delay_alu instid0(VALU_DEP_1) | instskip(NEXT) | instid1(VALU_DEP_1)
	v_add_nc_u32_e32 v3, v0, v3
	v_lshrrev_b32_e32 v3, s13, v3
	s_delay_alu instid0(VALU_DEP_1) | instskip(SKIP_1) | instid1(VALU_DEP_2)
	v_mul_lo_u32 v4, v3, s14
	v_cmp_gt_u32_e64 s2, s2, v3
	v_sub_nc_u32_e32 v0, v0, v4
	s_delay_alu instid0(VALU_DEP_1) | instskip(NEXT) | instid1(VALU_DEP_3)
	v_cmp_gt_u32_e32 vcc_lo, s14, v0
	s_and_b32 s2, vcc_lo, s2
	s_delay_alu instid0(SALU_CYCLE_1) | instskip(NEXT) | instid1(SALU_CYCLE_1)
	s_and_b32 s2, s2, s3
	s_and_b32 s2, s4, s2
	s_delay_alu instid0(SALU_CYCLE_1)
	s_and_saveexec_b32 s3, s2
	s_cbranch_execz .LBB28_5
; %bb.1:
	s_clause 0x4
	s_load_b64 s[2:3], s[0:1], 0x0
	s_load_b128 s[20:23], s[0:1], 0xa8
	s_load_b256 s[4:11], s[0:1], 0x88
	s_load_b128 s[24:27], s[0:1], 0x78
	s_load_b256 s[12:19], s[0:1], 0x58
	s_waitcnt lgkmcnt(0)
	s_cmp_eq_u64 s[2:3], 0
	s_cbranch_scc1 .LBB28_3
; %bb.2:
	v_mul_lo_u32 v4, v1, s10
	v_mul_lo_u32 v6, v2, s9
	v_mul_lo_u32 v7, v3, s8
	v_mov_b32_e32 v5, 0
	s_delay_alu instid0(VALU_DEP_2) | instskip(NEXT) | instid1(VALU_DEP_1)
	v_add3_u32 v4, v6, v4, v7
	v_lshlrev_b64 v[6:7], 1, v[4:5]
	v_mul_lo_u32 v4, v0, s7
	s_delay_alu instid0(VALU_DEP_2) | instskip(NEXT) | instid1(VALU_DEP_3)
	v_add_co_u32 v6, vcc_lo, s2, v6
	v_add_co_ci_u32_e32 v7, vcc_lo, s3, v7, vcc_lo
	s_delay_alu instid0(VALU_DEP_3) | instskip(NEXT) | instid1(VALU_DEP_1)
	v_lshlrev_b64 v[4:5], 1, v[4:5]
	v_add_co_u32 v4, vcc_lo, v6, v4
	s_delay_alu instid0(VALU_DEP_2)
	v_add_co_ci_u32_e32 v5, vcc_lo, v7, v5, vcc_lo
	global_load_u16 v4, v[4:5], off
	s_waitcnt vmcnt(0)
	v_cvt_f32_f16_e32 v4, v4
	s_branch .LBB28_4
.LBB28_3:
	v_mov_b32_e32 v4, 0
.LBB28_4:
	v_mul_hi_u32 v5, s25, v1
	v_mul_hi_u32 v6, s18, v2
	;; [unrolled: 1-line block ×4, first 2 shown]
	s_clause 0x1
	s_load_b64 s[2:3], s[0:1], 0xb8
	s_load_b64 s[0:1], s[0:1], 0x10
	s_delay_alu instid0(VALU_DEP_4) | instskip(NEXT) | instid1(VALU_DEP_4)
	v_add_nc_u32_e32 v5, v1, v5
	v_add_nc_u32_e32 v6, v2, v6
	s_delay_alu instid0(VALU_DEP_4) | instskip(NEXT) | instid1(VALU_DEP_4)
	v_add_nc_u32_e32 v7, v3, v7
	v_add_nc_u32_e32 v8, v0, v8
	s_delay_alu instid0(VALU_DEP_4) | instskip(NEXT) | instid1(VALU_DEP_4)
	v_lshrrev_b32_e32 v5, s26, v5
	v_lshrrev_b32_e32 v6, s19, v6
	s_delay_alu instid0(VALU_DEP_4) | instskip(NEXT) | instid1(VALU_DEP_4)
	v_lshrrev_b32_e32 v7, s16, v7
	v_lshrrev_b32_e32 v8, s13, v8
	s_delay_alu instid0(VALU_DEP_4) | instskip(NEXT) | instid1(VALU_DEP_4)
	v_mul_lo_u32 v5, v5, s27
	v_mul_lo_u32 v6, v6, s24
	s_delay_alu instid0(VALU_DEP_4) | instskip(NEXT) | instid1(VALU_DEP_4)
	v_mul_lo_u32 v7, v7, s17
	v_mul_lo_u32 v8, v8, s14
	s_delay_alu instid0(VALU_DEP_4) | instskip(NEXT) | instid1(VALU_DEP_4)
	v_sub_nc_u32_e32 v5, v1, v5
	v_sub_nc_u32_e32 v6, v2, v6
	s_delay_alu instid0(VALU_DEP_4) | instskip(NEXT) | instid1(VALU_DEP_4)
	v_sub_nc_u32_e32 v7, v3, v7
	v_sub_nc_u32_e32 v8, v0, v8
	v_mul_lo_u32 v1, v1, s6
	v_mul_lo_u32 v5, v5, s22
	;; [unrolled: 1-line block ×5, first 2 shown]
	s_delay_alu instid0(VALU_DEP_2) | instskip(SKIP_1) | instid1(VALU_DEP_2)
	v_add3_u32 v5, v6, v5, v7
	v_mul_lo_u32 v7, v8, s11
	v_ashrrev_i32_e32 v6, 31, v5
	s_delay_alu instid0(VALU_DEP_2) | instskip(NEXT) | instid1(VALU_DEP_2)
	v_ashrrev_i32_e32 v8, 31, v7
	v_lshlrev_b64 v[5:6], 2, v[5:6]
	s_delay_alu instid0(VALU_DEP_2) | instskip(SKIP_1) | instid1(VALU_DEP_2)
	v_lshlrev_b64 v[7:8], 2, v[7:8]
	s_waitcnt lgkmcnt(0)
	v_add_co_u32 v5, vcc_lo, s2, v5
	s_delay_alu instid0(VALU_DEP_3) | instskip(NEXT) | instid1(VALU_DEP_2)
	v_add_co_ci_u32_e32 v6, vcc_lo, s3, v6, vcc_lo
	v_add_co_u32 v5, vcc_lo, v5, v7
	s_delay_alu instid0(VALU_DEP_2) | instskip(SKIP_3) | instid1(VALU_DEP_2)
	v_add_co_ci_u32_e32 v6, vcc_lo, v6, v8, vcc_lo
	global_load_b32 v5, v[5:6], off
	v_mul_lo_u32 v6, v3, s4
	v_mov_b32_e32 v3, 0
	v_add3_u32 v2, v2, v1, v6
	s_delay_alu instid0(VALU_DEP_2) | instskip(NEXT) | instid1(VALU_DEP_2)
	v_mov_b32_e32 v1, v3
	v_lshlrev_b64 v[2:3], 1, v[2:3]
	s_delay_alu instid0(VALU_DEP_2) | instskip(NEXT) | instid1(VALU_DEP_2)
	v_lshlrev_b64 v[0:1], 1, v[0:1]
	v_add_co_u32 v2, vcc_lo, s0, v2
	s_delay_alu instid0(VALU_DEP_3) | instskip(NEXT) | instid1(VALU_DEP_2)
	v_add_co_ci_u32_e32 v3, vcc_lo, s1, v3, vcc_lo
	v_add_co_u32 v0, vcc_lo, v2, v0
	s_delay_alu instid0(VALU_DEP_2)
	v_add_co_ci_u32_e32 v1, vcc_lo, v3, v1, vcc_lo
	s_waitcnt vmcnt(0)
	v_fma_mixlo_f16 v4, v4, v5, 0
	global_store_b16 v[0:1], v4, off
.LBB28_5:
	s_nop 0
	s_sendmsg sendmsg(MSG_DEALLOC_VGPRS)
	s_endpgm
	.section	.rodata,"a",@progbits
	.p2align	6, 0x0
	.amdhsa_kernel _ZL19k_bin_bcast_unravelIXadL_ZL6op_mulffEE6__halffS0_JPKfEEvPKT0_PKT1_PT2_15HIP_vector_typeIjLj3EESC_SC_jSC_SC_SC_SC_SC_SC_iiiiiiiiiiiDpT3_
		.amdhsa_group_segment_fixed_size 0
		.amdhsa_private_segment_fixed_size 0
		.amdhsa_kernarg_size 448
		.amdhsa_user_sgpr_count 15
		.amdhsa_user_sgpr_dispatch_ptr 0
		.amdhsa_user_sgpr_queue_ptr 0
		.amdhsa_user_sgpr_kernarg_segment_ptr 1
		.amdhsa_user_sgpr_dispatch_id 0
		.amdhsa_user_sgpr_private_segment_size 0
		.amdhsa_wavefront_size32 1
		.amdhsa_uses_dynamic_stack 0
		.amdhsa_enable_private_segment 0
		.amdhsa_system_sgpr_workgroup_id_x 1
		.amdhsa_system_sgpr_workgroup_id_y 0
		.amdhsa_system_sgpr_workgroup_id_z 0
		.amdhsa_system_sgpr_workgroup_info 0
		.amdhsa_system_vgpr_workitem_id 0
		.amdhsa_next_free_vgpr 9
		.amdhsa_next_free_sgpr 28
		.amdhsa_reserve_vcc 1
		.amdhsa_float_round_mode_32 0
		.amdhsa_float_round_mode_16_64 0
		.amdhsa_float_denorm_mode_32 3
		.amdhsa_float_denorm_mode_16_64 3
		.amdhsa_dx10_clamp 1
		.amdhsa_ieee_mode 1
		.amdhsa_fp16_overflow 0
		.amdhsa_workgroup_processor_mode 1
		.amdhsa_memory_ordered 1
		.amdhsa_forward_progress 0
		.amdhsa_shared_vgpr_count 0
		.amdhsa_exception_fp_ieee_invalid_op 0
		.amdhsa_exception_fp_denorm_src 0
		.amdhsa_exception_fp_ieee_div_zero 0
		.amdhsa_exception_fp_ieee_overflow 0
		.amdhsa_exception_fp_ieee_underflow 0
		.amdhsa_exception_fp_ieee_inexact 0
		.amdhsa_exception_int_div_zero 0
	.end_amdhsa_kernel
	.section	.text._ZL19k_bin_bcast_unravelIXadL_ZL6op_mulffEE6__halffS0_JPKfEEvPKT0_PKT1_PT2_15HIP_vector_typeIjLj3EESC_SC_jSC_SC_SC_SC_SC_SC_iiiiiiiiiiiDpT3_,"axG",@progbits,_ZL19k_bin_bcast_unravelIXadL_ZL6op_mulffEE6__halffS0_JPKfEEvPKT0_PKT1_PT2_15HIP_vector_typeIjLj3EESC_SC_jSC_SC_SC_SC_SC_SC_iiiiiiiiiiiDpT3_,comdat
.Lfunc_end28:
	.size	_ZL19k_bin_bcast_unravelIXadL_ZL6op_mulffEE6__halffS0_JPKfEEvPKT0_PKT1_PT2_15HIP_vector_typeIjLj3EESC_SC_jSC_SC_SC_SC_SC_SC_iiiiiiiiiiiDpT3_, .Lfunc_end28-_ZL19k_bin_bcast_unravelIXadL_ZL6op_mulffEE6__halffS0_JPKfEEvPKT0_PKT1_PT2_15HIP_vector_typeIjLj3EESC_SC_jSC_SC_SC_SC_SC_SC_iiiiiiiiiiiDpT3_
                                        ; -- End function
	.section	.AMDGPU.csdata,"",@progbits
; Kernel info:
; codeLenInByte = 832
; NumSgprs: 30
; NumVgprs: 9
; ScratchSize: 0
; MemoryBound: 0
; FloatMode: 240
; IeeeMode: 1
; LDSByteSize: 0 bytes/workgroup (compile time only)
; SGPRBlocks: 3
; VGPRBlocks: 1
; NumSGPRsForWavesPerEU: 30
; NumVGPRsForWavesPerEU: 9
; Occupancy: 16
; WaveLimiterHint : 1
; COMPUTE_PGM_RSRC2:SCRATCH_EN: 0
; COMPUTE_PGM_RSRC2:USER_SGPR: 15
; COMPUTE_PGM_RSRC2:TRAP_HANDLER: 0
; COMPUTE_PGM_RSRC2:TGID_X_EN: 1
; COMPUTE_PGM_RSRC2:TGID_Y_EN: 0
; COMPUTE_PGM_RSRC2:TGID_Z_EN: 0
; COMPUTE_PGM_RSRC2:TIDIG_COMP_CNT: 0
	.section	.text._ZL11k_bin_bcastIXadL_ZL6op_mulffEE6__halffS0_JPKfEEvPKT0_PKT1_PT2_iii15HIP_vector_typeIjLj3EESC_SC_SC_SC_iiiiiiiiiiiDpT3_,"axG",@progbits,_ZL11k_bin_bcastIXadL_ZL6op_mulffEE6__halffS0_JPKfEEvPKT0_PKT1_PT2_iii15HIP_vector_typeIjLj3EESC_SC_SC_SC_iiiiiiiiiiiDpT3_,comdat
	.globl	_ZL11k_bin_bcastIXadL_ZL6op_mulffEE6__halffS0_JPKfEEvPKT0_PKT1_PT2_iii15HIP_vector_typeIjLj3EESC_SC_SC_SC_iiiiiiiiiiiDpT3_ ; -- Begin function _ZL11k_bin_bcastIXadL_ZL6op_mulffEE6__halffS0_JPKfEEvPKT0_PKT1_PT2_iii15HIP_vector_typeIjLj3EESC_SC_SC_SC_iiiiiiiiiiiDpT3_
	.p2align	8
	.type	_ZL11k_bin_bcastIXadL_ZL6op_mulffEE6__halffS0_JPKfEEvPKT0_PKT1_PT2_iii15HIP_vector_typeIjLj3EESC_SC_SC_SC_iiiiiiiiiiiDpT3_,@function
_ZL11k_bin_bcastIXadL_ZL6op_mulffEE6__halffS0_JPKfEEvPKT0_PKT1_PT2_iii15HIP_vector_typeIjLj3EESC_SC_SC_SC_iiiiiiiiiiiDpT3_: ; @_ZL11k_bin_bcastIXadL_ZL6op_mulffEE6__halffS0_JPKfEEvPKT0_PKT1_PT2_iii15HIP_vector_typeIjLj3EESC_SC_SC_SC_iiiiiiiiiiiDpT3_
; %bb.0:
	s_clause 0x1
	s_load_b64 s[2:3], s[0:1], 0xa4
	s_load_b256 s[16:23], s[0:1], 0x18
	v_bfe_u32 v1, v0, 20, 10
	s_add_u32 s24, s0, 0x98
	s_addc_u32 s25, s1, 0
	v_bfe_u32 v6, v0, 10, 10
	s_waitcnt lgkmcnt(0)
	s_and_b32 s3, s3, 0xffff
	s_and_b32 s12, s2, 0xffff
	v_mad_u64_u32 v[2:3], null, s15, s3, v[1:2]
	v_and_b32_e32 v3, 0x3ff, v0
	s_lshr_b32 s3, s2, 16
	s_delay_alu instid0(VALU_DEP_2) | instskip(NEXT) | instid1(VALU_DEP_1)
	v_mul_hi_u32 v1, v2, s19
	v_add_nc_u32_e32 v1, v2, v1
	s_delay_alu instid0(VALU_DEP_1) | instskip(SKIP_2) | instid1(VALU_DEP_3)
	v_lshrrev_b32_e32 v5, s20, v1
	v_mad_u64_u32 v[0:1], null, s13, s12, v[3:4]
	v_mad_u64_u32 v[3:4], null, s14, s3, v[6:7]
	v_mul_lo_u32 v1, v5, s21
	v_cmp_gt_u32_e64 s3, s18, v5
	s_delay_alu instid0(VALU_DEP_4) | instskip(NEXT) | instid1(VALU_DEP_4)
	v_cmp_gt_u32_e32 vcc_lo, s16, v0
	v_cmp_gt_u32_e64 s2, s17, v3
	s_delay_alu instid0(VALU_DEP_4) | instskip(NEXT) | instid1(VALU_DEP_2)
	v_sub_nc_u32_e32 v4, v2, v1
	s_and_b32 s2, vcc_lo, s2
	s_delay_alu instid0(SALU_CYCLE_1) | instskip(NEXT) | instid1(VALU_DEP_1)
	s_and_b32 s2, s2, s3
	v_cmp_gt_u32_e64 s4, s21, v4
	s_delay_alu instid0(VALU_DEP_1) | instskip(NEXT) | instid1(SALU_CYCLE_1)
	s_and_b32 s2, s2, s4
	s_and_saveexec_b32 s3, s2
	s_cbranch_execz .LBB29_6
; %bb.1:
	v_cmp_gt_i32_e32 vcc_lo, s16, v0
	s_and_b32 exec_lo, exec_lo, vcc_lo
	s_cbranch_execz .LBB29_6
; %bb.2:
	s_clause 0x2
	s_load_b256 s[36:43], s[0:1], 0x3c
	s_load_b256 s[4:11], s[0:1], 0x60
	s_load_b32 s13, s[0:1], 0x5c
	s_load_b32 s17, s[24:25], 0x0
	s_clause 0x4
	s_load_b128 s[24:27], s[0:1], 0x80
	s_load_b64 s[2:3], s[0:1], 0x0
	s_load_b32 s18, s[0:1], 0x38
	s_load_b64 s[14:15], s[0:1], 0x10
	s_load_b64 s[0:1], s[0:1], 0x90
	s_waitcnt lgkmcnt(0)
	v_mul_hi_u32 v1, s39, v5
	v_mov_b32_e32 v2, 0
	v_mul_hi_u32 v6, s42, v4
	v_mul_hi_u32 v7, s36, v3
	v_mul_lo_u32 v8, v4, s10
	v_mul_lo_u32 v9, v5, s9
	;; [unrolled: 1-line block ×4, first 2 shown]
	v_add_nc_u32_e32 v1, v5, v1
	v_mul_lo_u32 v12, v4, s6
	v_add_nc_u32_e32 v6, v4, v6
	v_add_nc_u32_e32 v7, v3, v7
	v_mul_lo_u32 v14, v3, s4
	v_lshrrev_b32_e32 v1, s40, v1
	s_cmp_lg_u64 s[2:3], 0
	s_delay_alu instid0(VALU_DEP_3) | instskip(NEXT) | instid1(VALU_DEP_2)
	v_lshrrev_b32_e32 v7, s37, v7
	v_mul_lo_u32 v11, v1, s41
	v_add3_u32 v1, v9, v10, v8
	s_delay_alu instid0(VALU_DEP_3) | instskip(NEXT) | instid1(VALU_DEP_3)
	v_mul_lo_u32 v7, v7, s38
	v_sub_nc_u32_e32 v8, v5, v11
	v_mov_b32_e32 v5, v2
	v_lshrrev_b32_e32 v6, s43, v6
	s_delay_alu instid0(VALU_DEP_4) | instskip(NEXT) | instid1(VALU_DEP_2)
	v_sub_nc_u32_e32 v3, v3, v7
	v_mul_lo_u32 v6, v6, s13
	s_delay_alu instid0(VALU_DEP_2) | instskip(SKIP_1) | instid1(VALU_DEP_3)
	v_mul_lo_u32 v9, v3, s24
	v_mul_lo_u32 v3, s7, v0
	v_sub_nc_u32_e32 v4, v4, v6
	v_lshlrev_b64 v[6:7], 1, v[1:2]
	v_mul_lo_u32 v1, v8, s25
	s_delay_alu instid0(VALU_DEP_3) | instskip(SKIP_1) | instid1(VALU_DEP_4)
	v_mul_lo_u32 v8, v4, s26
	v_add3_u32 v4, v13, v14, v12
	v_add_co_u32 v10, vcc_lo, s2, v6
	v_add_co_ci_u32_e32 v6, vcc_lo, s3, v7, vcc_lo
	s_cselect_b32 vcc_lo, -1, 0
	s_mul_i32 s2, s17, s12
	s_delay_alu instid0(VALU_DEP_4) | instskip(NEXT) | instid1(VALU_DEP_2)
	v_add3_u32 v1, v1, v8, v9
	v_cndmask_b32_e32 v6, 0, v6, vcc_lo
	v_lshlrev_b64 v[7:8], 1, v[4:5]
	v_cndmask_b32_e32 v5, 0, v10, vcc_lo
	s_mov_b32 s3, 0
	v_lshlrev_b64 v[9:10], 2, v[1:2]
	s_mul_i32 s4, s2, s7
	s_sub_i32 s5, 0, s18
	v_add_co_u32 v7, vcc_lo, s14, v7
	v_add_co_ci_u32_e32 v8, vcc_lo, s15, v8, vcc_lo
	s_delay_alu instid0(VALU_DEP_3)
	v_add_co_u32 v9, s0, s0, v9
	v_cmp_ne_u64_e32 vcc_lo, 0, v[5:6]
	v_add_co_ci_u32_e64 v10, s0, s1, v10, s0
	s_branch .LBB29_4
.LBB29_3:                               ;   in Loop: Header=BB29_4 Depth=1
	s_or_b32 exec_lo, exec_lo, s1
	v_mul_hi_u32 v1, s22, v0
	v_add_nc_u32_e32 v3, s4, v3
	s_delay_alu instid0(VALU_DEP_2) | instskip(NEXT) | instid1(VALU_DEP_1)
	v_add_nc_u32_e32 v1, v0, v1
	v_lshrrev_b32_e32 v1, s23, v1
	s_delay_alu instid0(VALU_DEP_1) | instskip(NEXT) | instid1(VALU_DEP_1)
	v_mad_u64_u32 v[11:12], null, s5, v1, v[0:1]
	v_mul_lo_u32 v1, v11, s11
	s_delay_alu instid0(VALU_DEP_1) | instskip(SKIP_1) | instid1(VALU_DEP_2)
	v_lshlrev_b64 v[11:12], 2, v[1:2]
	v_ashrrev_i32_e32 v1, 31, v0
	v_add_co_u32 v11, s0, v9, v11
	s_delay_alu instid0(VALU_DEP_1) | instskip(SKIP_3) | instid1(VALU_DEP_1)
	v_add_co_ci_u32_e64 v12, s0, v10, v12, s0
	global_load_b32 v13, v[11:12], off
	v_lshlrev_b64 v[11:12], 1, v[0:1]
	v_add_nc_u32_e32 v0, s2, v0
	v_cmp_le_i32_e64 s0, s16, v0
	s_delay_alu instid0(VALU_DEP_3) | instskip(NEXT) | instid1(VALU_DEP_1)
	v_add_co_u32 v11, s1, v7, v11
	v_add_co_ci_u32_e64 v12, s1, v8, v12, s1
	s_delay_alu instid0(VALU_DEP_3)
	s_or_b32 s3, s0, s3
	s_waitcnt vmcnt(0)
	v_fma_mixlo_f16 v1, v4, v13, 0
	global_store_b16 v[11:12], v1, off
	s_and_not1_b32 exec_lo, exec_lo, s3
	s_cbranch_execz .LBB29_6
.LBB29_4:                               ; =>This Inner Loop Header: Depth=1
	v_mov_b32_e32 v4, 0
	s_and_saveexec_b32 s1, vcc_lo
	s_cbranch_execz .LBB29_3
; %bb.5:                                ;   in Loop: Header=BB29_4 Depth=1
	v_ashrrev_i32_e32 v4, 31, v3
	s_delay_alu instid0(VALU_DEP_1) | instskip(NEXT) | instid1(VALU_DEP_1)
	v_lshlrev_b64 v[11:12], 1, v[3:4]
	v_add_co_u32 v11, s0, v5, v11
	s_delay_alu instid0(VALU_DEP_1)
	v_add_co_ci_u32_e64 v12, s0, v6, v12, s0
	global_load_u16 v1, v[11:12], off
	s_waitcnt vmcnt(0)
	v_cvt_f32_f16_e32 v4, v1
	s_branch .LBB29_3
.LBB29_6:
	s_nop 0
	s_sendmsg sendmsg(MSG_DEALLOC_VGPRS)
	s_endpgm
	.section	.rodata,"a",@progbits
	.p2align	6, 0x0
	.amdhsa_kernel _ZL11k_bin_bcastIXadL_ZL6op_mulffEE6__halffS0_JPKfEEvPKT0_PKT1_PT2_iii15HIP_vector_typeIjLj3EESC_SC_SC_SC_iiiiiiiiiiiDpT3_
		.amdhsa_group_segment_fixed_size 0
		.amdhsa_private_segment_fixed_size 0
		.amdhsa_kernarg_size 408
		.amdhsa_user_sgpr_count 13
		.amdhsa_user_sgpr_dispatch_ptr 0
		.amdhsa_user_sgpr_queue_ptr 0
		.amdhsa_user_sgpr_kernarg_segment_ptr 1
		.amdhsa_user_sgpr_dispatch_id 0
		.amdhsa_user_sgpr_private_segment_size 0
		.amdhsa_wavefront_size32 1
		.amdhsa_uses_dynamic_stack 0
		.amdhsa_enable_private_segment 0
		.amdhsa_system_sgpr_workgroup_id_x 1
		.amdhsa_system_sgpr_workgroup_id_y 1
		.amdhsa_system_sgpr_workgroup_id_z 1
		.amdhsa_system_sgpr_workgroup_info 0
		.amdhsa_system_vgpr_workitem_id 2
		.amdhsa_next_free_vgpr 15
		.amdhsa_next_free_sgpr 44
		.amdhsa_reserve_vcc 1
		.amdhsa_float_round_mode_32 0
		.amdhsa_float_round_mode_16_64 0
		.amdhsa_float_denorm_mode_32 3
		.amdhsa_float_denorm_mode_16_64 3
		.amdhsa_dx10_clamp 1
		.amdhsa_ieee_mode 1
		.amdhsa_fp16_overflow 0
		.amdhsa_workgroup_processor_mode 1
		.amdhsa_memory_ordered 1
		.amdhsa_forward_progress 0
		.amdhsa_shared_vgpr_count 0
		.amdhsa_exception_fp_ieee_invalid_op 0
		.amdhsa_exception_fp_denorm_src 0
		.amdhsa_exception_fp_ieee_div_zero 0
		.amdhsa_exception_fp_ieee_overflow 0
		.amdhsa_exception_fp_ieee_underflow 0
		.amdhsa_exception_fp_ieee_inexact 0
		.amdhsa_exception_int_div_zero 0
	.end_amdhsa_kernel
	.section	.text._ZL11k_bin_bcastIXadL_ZL6op_mulffEE6__halffS0_JPKfEEvPKT0_PKT1_PT2_iii15HIP_vector_typeIjLj3EESC_SC_SC_SC_iiiiiiiiiiiDpT3_,"axG",@progbits,_ZL11k_bin_bcastIXadL_ZL6op_mulffEE6__halffS0_JPKfEEvPKT0_PKT1_PT2_iii15HIP_vector_typeIjLj3EESC_SC_SC_SC_iiiiiiiiiiiDpT3_,comdat
.Lfunc_end29:
	.size	_ZL11k_bin_bcastIXadL_ZL6op_mulffEE6__halffS0_JPKfEEvPKT0_PKT1_PT2_iii15HIP_vector_typeIjLj3EESC_SC_SC_SC_iiiiiiiiiiiDpT3_, .Lfunc_end29-_ZL11k_bin_bcastIXadL_ZL6op_mulffEE6__halffS0_JPKfEEvPKT0_PKT1_PT2_iii15HIP_vector_typeIjLj3EESC_SC_SC_SC_iiiiiiiiiiiDpT3_
                                        ; -- End function
	.section	.AMDGPU.csdata,"",@progbits
; Kernel info:
; codeLenInByte = 876
; NumSgprs: 46
; NumVgprs: 15
; ScratchSize: 0
; MemoryBound: 0
; FloatMode: 240
; IeeeMode: 1
; LDSByteSize: 0 bytes/workgroup (compile time only)
; SGPRBlocks: 5
; VGPRBlocks: 1
; NumSGPRsForWavesPerEU: 46
; NumVGPRsForWavesPerEU: 15
; Occupancy: 16
; WaveLimiterHint : 1
; COMPUTE_PGM_RSRC2:SCRATCH_EN: 0
; COMPUTE_PGM_RSRC2:USER_SGPR: 13
; COMPUTE_PGM_RSRC2:TRAP_HANDLER: 0
; COMPUTE_PGM_RSRC2:TGID_X_EN: 1
; COMPUTE_PGM_RSRC2:TGID_Y_EN: 1
; COMPUTE_PGM_RSRC2:TGID_Z_EN: 1
; COMPUTE_PGM_RSRC2:TIDIG_COMP_CNT: 2
	.section	.text._ZL19k_bin_bcast_unravelIXadL_ZL6op_mulffEE6__halfffJPKfEEvPKT0_PKT1_PT2_15HIP_vector_typeIjLj3EESC_SC_jSC_SC_SC_SC_SC_SC_iiiiiiiiiiiDpT3_,"axG",@progbits,_ZL19k_bin_bcast_unravelIXadL_ZL6op_mulffEE6__halfffJPKfEEvPKT0_PKT1_PT2_15HIP_vector_typeIjLj3EESC_SC_jSC_SC_SC_SC_SC_SC_iiiiiiiiiiiDpT3_,comdat
	.globl	_ZL19k_bin_bcast_unravelIXadL_ZL6op_mulffEE6__halfffJPKfEEvPKT0_PKT1_PT2_15HIP_vector_typeIjLj3EESC_SC_jSC_SC_SC_SC_SC_SC_iiiiiiiiiiiDpT3_ ; -- Begin function _ZL19k_bin_bcast_unravelIXadL_ZL6op_mulffEE6__halfffJPKfEEvPKT0_PKT1_PT2_15HIP_vector_typeIjLj3EESC_SC_jSC_SC_SC_SC_SC_SC_iiiiiiiiiiiDpT3_
	.p2align	8
	.type	_ZL19k_bin_bcast_unravelIXadL_ZL6op_mulffEE6__halfffJPKfEEvPKT0_PKT1_PT2_15HIP_vector_typeIjLj3EESC_SC_jSC_SC_SC_SC_SC_SC_iiiiiiiiiiiDpT3_,@function
_ZL19k_bin_bcast_unravelIXadL_ZL6op_mulffEE6__halfffJPKfEEvPKT0_PKT1_PT2_15HIP_vector_typeIjLj3EESC_SC_jSC_SC_SC_SC_SC_SC_iiiiiiiiiiiDpT3_: ; @_ZL19k_bin_bcast_unravelIXadL_ZL6op_mulffEE6__halfffJPKfEEvPKT0_PKT1_PT2_15HIP_vector_typeIjLj3EESC_SC_jSC_SC_SC_SC_SC_SC_iiiiiiiiiiiDpT3_
; %bb.0:
	s_clause 0x1
	s_load_b32 s2, s[0:1], 0xcc
	s_load_b256 s[4:11], s[0:1], 0x38
	s_waitcnt lgkmcnt(0)
	s_and_b32 s2, s2, 0xffff
	s_delay_alu instid0(SALU_CYCLE_1) | instskip(SKIP_3) | instid1(VALU_DEP_1)
	v_mad_u64_u32 v[2:3], null, s15, s2, v[0:1]
	s_clause 0x1
	s_load_b128 s[12:15], s[0:1], 0x18
	s_load_b32 s2, s[0:1], 0x2c
	v_mul_hi_u32 v0, v2, s6
	s_delay_alu instid0(VALU_DEP_1) | instskip(NEXT) | instid1(VALU_DEP_1)
	v_add_nc_u32_e32 v0, v2, v0
	v_lshrrev_b32_e32 v1, s7, v0
	s_delay_alu instid0(VALU_DEP_1) | instskip(NEXT) | instid1(VALU_DEP_1)
	v_mul_lo_u32 v0, v1, s8
	v_sub_nc_u32_e32 v0, v2, v0
	s_delay_alu instid0(VALU_DEP_1) | instskip(NEXT) | instid1(VALU_DEP_1)
	v_mul_hi_u32 v2, v0, s9
	v_add_nc_u32_e32 v2, v0, v2
	s_delay_alu instid0(VALU_DEP_1) | instskip(NEXT) | instid1(VALU_DEP_1)
	v_lshrrev_b32_e32 v2, s10, v2
	v_mul_lo_u32 v3, v2, s11
	v_cmp_gt_u32_e64 s3, s4, v2
	v_cmp_gt_u32_e64 s4, s5, v1
	s_delay_alu instid0(VALU_DEP_3) | instskip(SKIP_1) | instid1(VALU_DEP_1)
	v_sub_nc_u32_e32 v0, v0, v3
	s_waitcnt lgkmcnt(0)
	v_mul_hi_u32 v3, v0, s12
	s_delay_alu instid0(VALU_DEP_1) | instskip(NEXT) | instid1(VALU_DEP_1)
	v_add_nc_u32_e32 v3, v0, v3
	v_lshrrev_b32_e32 v3, s13, v3
	s_delay_alu instid0(VALU_DEP_1) | instskip(SKIP_1) | instid1(VALU_DEP_2)
	v_mul_lo_u32 v4, v3, s14
	v_cmp_gt_u32_e64 s2, s2, v3
	v_sub_nc_u32_e32 v0, v0, v4
	s_delay_alu instid0(VALU_DEP_1) | instskip(NEXT) | instid1(VALU_DEP_3)
	v_cmp_gt_u32_e32 vcc_lo, s14, v0
	s_and_b32 s2, vcc_lo, s2
	s_delay_alu instid0(SALU_CYCLE_1) | instskip(NEXT) | instid1(SALU_CYCLE_1)
	s_and_b32 s2, s2, s3
	s_and_b32 s2, s4, s2
	s_delay_alu instid0(SALU_CYCLE_1)
	s_and_saveexec_b32 s3, s2
	s_cbranch_execz .LBB30_5
; %bb.1:
	s_clause 0x4
	s_load_b64 s[2:3], s[0:1], 0x0
	s_load_b128 s[20:23], s[0:1], 0xa8
	s_load_b256 s[4:11], s[0:1], 0x88
	s_load_b128 s[24:27], s[0:1], 0x78
	s_load_b256 s[12:19], s[0:1], 0x58
	s_waitcnt lgkmcnt(0)
	s_cmp_eq_u64 s[2:3], 0
	s_cbranch_scc1 .LBB30_3
; %bb.2:
	v_mul_lo_u32 v4, v1, s10
	v_mul_lo_u32 v6, v2, s9
	;; [unrolled: 1-line block ×3, first 2 shown]
	v_mov_b32_e32 v5, 0
	s_delay_alu instid0(VALU_DEP_2) | instskip(NEXT) | instid1(VALU_DEP_1)
	v_add3_u32 v4, v6, v4, v7
	v_lshlrev_b64 v[6:7], 1, v[4:5]
	v_mul_lo_u32 v4, v0, s7
	s_delay_alu instid0(VALU_DEP_2) | instskip(NEXT) | instid1(VALU_DEP_3)
	v_add_co_u32 v6, vcc_lo, s2, v6
	v_add_co_ci_u32_e32 v7, vcc_lo, s3, v7, vcc_lo
	s_delay_alu instid0(VALU_DEP_3) | instskip(NEXT) | instid1(VALU_DEP_1)
	v_lshlrev_b64 v[4:5], 1, v[4:5]
	v_add_co_u32 v4, vcc_lo, v6, v4
	s_delay_alu instid0(VALU_DEP_2)
	v_add_co_ci_u32_e32 v5, vcc_lo, v7, v5, vcc_lo
	global_load_u16 v4, v[4:5], off
	s_waitcnt vmcnt(0)
	v_cvt_f32_f16_e32 v4, v4
	s_branch .LBB30_4
.LBB30_3:
	v_mov_b32_e32 v4, 0
.LBB30_4:
	v_mul_hi_u32 v5, s25, v1
	v_mul_hi_u32 v6, s18, v2
	;; [unrolled: 1-line block ×4, first 2 shown]
	s_clause 0x1
	s_load_b64 s[2:3], s[0:1], 0xb8
	s_load_b64 s[0:1], s[0:1], 0x10
	s_delay_alu instid0(VALU_DEP_4) | instskip(NEXT) | instid1(VALU_DEP_4)
	v_add_nc_u32_e32 v5, v1, v5
	v_add_nc_u32_e32 v6, v2, v6
	s_delay_alu instid0(VALU_DEP_4) | instskip(NEXT) | instid1(VALU_DEP_4)
	v_add_nc_u32_e32 v7, v3, v7
	v_add_nc_u32_e32 v8, v0, v8
	s_delay_alu instid0(VALU_DEP_4) | instskip(NEXT) | instid1(VALU_DEP_4)
	v_lshrrev_b32_e32 v5, s26, v5
	v_lshrrev_b32_e32 v6, s19, v6
	s_delay_alu instid0(VALU_DEP_4) | instskip(NEXT) | instid1(VALU_DEP_4)
	v_lshrrev_b32_e32 v7, s16, v7
	v_lshrrev_b32_e32 v8, s13, v8
	s_delay_alu instid0(VALU_DEP_4) | instskip(NEXT) | instid1(VALU_DEP_4)
	v_mul_lo_u32 v5, v5, s27
	v_mul_lo_u32 v6, v6, s24
	s_delay_alu instid0(VALU_DEP_4) | instskip(NEXT) | instid1(VALU_DEP_4)
	v_mul_lo_u32 v7, v7, s17
	v_mul_lo_u32 v8, v8, s14
	s_delay_alu instid0(VALU_DEP_4) | instskip(NEXT) | instid1(VALU_DEP_4)
	v_sub_nc_u32_e32 v5, v1, v5
	v_sub_nc_u32_e32 v6, v2, v6
	s_delay_alu instid0(VALU_DEP_4) | instskip(NEXT) | instid1(VALU_DEP_4)
	v_sub_nc_u32_e32 v7, v3, v7
	v_sub_nc_u32_e32 v8, v0, v8
	v_mul_lo_u32 v1, v1, s6
	v_mul_lo_u32 v5, v5, s22
	;; [unrolled: 1-line block ×5, first 2 shown]
	s_delay_alu instid0(VALU_DEP_2) | instskip(SKIP_1) | instid1(VALU_DEP_2)
	v_add3_u32 v5, v6, v5, v7
	v_mul_lo_u32 v7, v8, s11
	v_ashrrev_i32_e32 v6, 31, v5
	s_delay_alu instid0(VALU_DEP_2) | instskip(NEXT) | instid1(VALU_DEP_2)
	v_ashrrev_i32_e32 v8, 31, v7
	v_lshlrev_b64 v[5:6], 2, v[5:6]
	s_delay_alu instid0(VALU_DEP_2) | instskip(SKIP_1) | instid1(VALU_DEP_2)
	v_lshlrev_b64 v[7:8], 2, v[7:8]
	s_waitcnt lgkmcnt(0)
	v_add_co_u32 v5, vcc_lo, s2, v5
	s_delay_alu instid0(VALU_DEP_3) | instskip(NEXT) | instid1(VALU_DEP_2)
	v_add_co_ci_u32_e32 v6, vcc_lo, s3, v6, vcc_lo
	v_add_co_u32 v5, vcc_lo, v5, v7
	s_delay_alu instid0(VALU_DEP_2) | instskip(SKIP_3) | instid1(VALU_DEP_2)
	v_add_co_ci_u32_e32 v6, vcc_lo, v6, v8, vcc_lo
	global_load_b32 v5, v[5:6], off
	v_mul_lo_u32 v6, v3, s4
	v_mov_b32_e32 v3, 0
	v_add3_u32 v2, v2, v1, v6
	s_delay_alu instid0(VALU_DEP_2) | instskip(NEXT) | instid1(VALU_DEP_2)
	v_mov_b32_e32 v1, v3
	v_lshlrev_b64 v[2:3], 2, v[2:3]
	s_delay_alu instid0(VALU_DEP_2) | instskip(NEXT) | instid1(VALU_DEP_2)
	v_lshlrev_b64 v[0:1], 2, v[0:1]
	v_add_co_u32 v2, vcc_lo, s0, v2
	s_delay_alu instid0(VALU_DEP_3) | instskip(NEXT) | instid1(VALU_DEP_2)
	v_add_co_ci_u32_e32 v3, vcc_lo, s1, v3, vcc_lo
	v_add_co_u32 v0, vcc_lo, v2, v0
	s_delay_alu instid0(VALU_DEP_2)
	v_add_co_ci_u32_e32 v1, vcc_lo, v3, v1, vcc_lo
	s_waitcnt vmcnt(0)
	v_mul_f32_e32 v4, v4, v5
	global_store_b32 v[0:1], v4, off
.LBB30_5:
	s_nop 0
	s_sendmsg sendmsg(MSG_DEALLOC_VGPRS)
	s_endpgm
	.section	.rodata,"a",@progbits
	.p2align	6, 0x0
	.amdhsa_kernel _ZL19k_bin_bcast_unravelIXadL_ZL6op_mulffEE6__halfffJPKfEEvPKT0_PKT1_PT2_15HIP_vector_typeIjLj3EESC_SC_jSC_SC_SC_SC_SC_SC_iiiiiiiiiiiDpT3_
		.amdhsa_group_segment_fixed_size 0
		.amdhsa_private_segment_fixed_size 0
		.amdhsa_kernarg_size 448
		.amdhsa_user_sgpr_count 15
		.amdhsa_user_sgpr_dispatch_ptr 0
		.amdhsa_user_sgpr_queue_ptr 0
		.amdhsa_user_sgpr_kernarg_segment_ptr 1
		.amdhsa_user_sgpr_dispatch_id 0
		.amdhsa_user_sgpr_private_segment_size 0
		.amdhsa_wavefront_size32 1
		.amdhsa_uses_dynamic_stack 0
		.amdhsa_enable_private_segment 0
		.amdhsa_system_sgpr_workgroup_id_x 1
		.amdhsa_system_sgpr_workgroup_id_y 0
		.amdhsa_system_sgpr_workgroup_id_z 0
		.amdhsa_system_sgpr_workgroup_info 0
		.amdhsa_system_vgpr_workitem_id 0
		.amdhsa_next_free_vgpr 9
		.amdhsa_next_free_sgpr 28
		.amdhsa_reserve_vcc 1
		.amdhsa_float_round_mode_32 0
		.amdhsa_float_round_mode_16_64 0
		.amdhsa_float_denorm_mode_32 3
		.amdhsa_float_denorm_mode_16_64 3
		.amdhsa_dx10_clamp 1
		.amdhsa_ieee_mode 1
		.amdhsa_fp16_overflow 0
		.amdhsa_workgroup_processor_mode 1
		.amdhsa_memory_ordered 1
		.amdhsa_forward_progress 0
		.amdhsa_shared_vgpr_count 0
		.amdhsa_exception_fp_ieee_invalid_op 0
		.amdhsa_exception_fp_denorm_src 0
		.amdhsa_exception_fp_ieee_div_zero 0
		.amdhsa_exception_fp_ieee_overflow 0
		.amdhsa_exception_fp_ieee_underflow 0
		.amdhsa_exception_fp_ieee_inexact 0
		.amdhsa_exception_int_div_zero 0
	.end_amdhsa_kernel
	.section	.text._ZL19k_bin_bcast_unravelIXadL_ZL6op_mulffEE6__halfffJPKfEEvPKT0_PKT1_PT2_15HIP_vector_typeIjLj3EESC_SC_jSC_SC_SC_SC_SC_SC_iiiiiiiiiiiDpT3_,"axG",@progbits,_ZL19k_bin_bcast_unravelIXadL_ZL6op_mulffEE6__halfffJPKfEEvPKT0_PKT1_PT2_15HIP_vector_typeIjLj3EESC_SC_jSC_SC_SC_SC_SC_SC_iiiiiiiiiiiDpT3_,comdat
.Lfunc_end30:
	.size	_ZL19k_bin_bcast_unravelIXadL_ZL6op_mulffEE6__halfffJPKfEEvPKT0_PKT1_PT2_15HIP_vector_typeIjLj3EESC_SC_jSC_SC_SC_SC_SC_SC_iiiiiiiiiiiDpT3_, .Lfunc_end30-_ZL19k_bin_bcast_unravelIXadL_ZL6op_mulffEE6__halfffJPKfEEvPKT0_PKT1_PT2_15HIP_vector_typeIjLj3EESC_SC_jSC_SC_SC_SC_SC_SC_iiiiiiiiiiiDpT3_
                                        ; -- End function
	.section	.AMDGPU.csdata,"",@progbits
; Kernel info:
; codeLenInByte = 828
; NumSgprs: 30
; NumVgprs: 9
; ScratchSize: 0
; MemoryBound: 0
; FloatMode: 240
; IeeeMode: 1
; LDSByteSize: 0 bytes/workgroup (compile time only)
; SGPRBlocks: 3
; VGPRBlocks: 1
; NumSGPRsForWavesPerEU: 30
; NumVGPRsForWavesPerEU: 9
; Occupancy: 16
; WaveLimiterHint : 1
; COMPUTE_PGM_RSRC2:SCRATCH_EN: 0
; COMPUTE_PGM_RSRC2:USER_SGPR: 15
; COMPUTE_PGM_RSRC2:TRAP_HANDLER: 0
; COMPUTE_PGM_RSRC2:TGID_X_EN: 1
; COMPUTE_PGM_RSRC2:TGID_Y_EN: 0
; COMPUTE_PGM_RSRC2:TGID_Z_EN: 0
; COMPUTE_PGM_RSRC2:TIDIG_COMP_CNT: 0
	.section	.text._ZL11k_bin_bcastIXadL_ZL6op_mulffEE6__halfffJPKfEEvPKT0_PKT1_PT2_iii15HIP_vector_typeIjLj3EESC_SC_SC_SC_iiiiiiiiiiiDpT3_,"axG",@progbits,_ZL11k_bin_bcastIXadL_ZL6op_mulffEE6__halfffJPKfEEvPKT0_PKT1_PT2_iii15HIP_vector_typeIjLj3EESC_SC_SC_SC_iiiiiiiiiiiDpT3_,comdat
	.globl	_ZL11k_bin_bcastIXadL_ZL6op_mulffEE6__halfffJPKfEEvPKT0_PKT1_PT2_iii15HIP_vector_typeIjLj3EESC_SC_SC_SC_iiiiiiiiiiiDpT3_ ; -- Begin function _ZL11k_bin_bcastIXadL_ZL6op_mulffEE6__halfffJPKfEEvPKT0_PKT1_PT2_iii15HIP_vector_typeIjLj3EESC_SC_SC_SC_iiiiiiiiiiiDpT3_
	.p2align	8
	.type	_ZL11k_bin_bcastIXadL_ZL6op_mulffEE6__halfffJPKfEEvPKT0_PKT1_PT2_iii15HIP_vector_typeIjLj3EESC_SC_SC_SC_iiiiiiiiiiiDpT3_,@function
_ZL11k_bin_bcastIXadL_ZL6op_mulffEE6__halfffJPKfEEvPKT0_PKT1_PT2_iii15HIP_vector_typeIjLj3EESC_SC_SC_SC_iiiiiiiiiiiDpT3_: ; @_ZL11k_bin_bcastIXadL_ZL6op_mulffEE6__halfffJPKfEEvPKT0_PKT1_PT2_iii15HIP_vector_typeIjLj3EESC_SC_SC_SC_iiiiiiiiiiiDpT3_
; %bb.0:
	s_clause 0x1
	s_load_b64 s[2:3], s[0:1], 0xa4
	s_load_b256 s[16:23], s[0:1], 0x18
	v_bfe_u32 v1, v0, 20, 10
	s_add_u32 s24, s0, 0x98
	s_addc_u32 s25, s1, 0
	v_bfe_u32 v6, v0, 10, 10
	s_waitcnt lgkmcnt(0)
	s_and_b32 s3, s3, 0xffff
	s_and_b32 s12, s2, 0xffff
	v_mad_u64_u32 v[2:3], null, s15, s3, v[1:2]
	v_and_b32_e32 v3, 0x3ff, v0
	s_lshr_b32 s3, s2, 16
	s_delay_alu instid0(VALU_DEP_2) | instskip(NEXT) | instid1(VALU_DEP_1)
	v_mul_hi_u32 v1, v2, s19
	v_add_nc_u32_e32 v1, v2, v1
	s_delay_alu instid0(VALU_DEP_1) | instskip(SKIP_2) | instid1(VALU_DEP_3)
	v_lshrrev_b32_e32 v5, s20, v1
	v_mad_u64_u32 v[0:1], null, s13, s12, v[3:4]
	v_mad_u64_u32 v[3:4], null, s14, s3, v[6:7]
	v_mul_lo_u32 v1, v5, s21
	v_cmp_gt_u32_e64 s3, s18, v5
	s_delay_alu instid0(VALU_DEP_4) | instskip(NEXT) | instid1(VALU_DEP_4)
	v_cmp_gt_u32_e32 vcc_lo, s16, v0
	v_cmp_gt_u32_e64 s2, s17, v3
	s_delay_alu instid0(VALU_DEP_4) | instskip(NEXT) | instid1(VALU_DEP_2)
	v_sub_nc_u32_e32 v4, v2, v1
	s_and_b32 s2, vcc_lo, s2
	s_delay_alu instid0(SALU_CYCLE_1) | instskip(NEXT) | instid1(VALU_DEP_1)
	s_and_b32 s2, s2, s3
	v_cmp_gt_u32_e64 s4, s21, v4
	s_delay_alu instid0(VALU_DEP_1) | instskip(NEXT) | instid1(SALU_CYCLE_1)
	s_and_b32 s2, s2, s4
	s_and_saveexec_b32 s3, s2
	s_cbranch_execz .LBB31_6
; %bb.1:
	v_cmp_gt_i32_e32 vcc_lo, s16, v0
	s_and_b32 exec_lo, exec_lo, vcc_lo
	s_cbranch_execz .LBB31_6
; %bb.2:
	s_clause 0x2
	s_load_b256 s[36:43], s[0:1], 0x3c
	s_load_b256 s[4:11], s[0:1], 0x60
	s_load_b32 s13, s[0:1], 0x5c
	s_load_b32 s17, s[24:25], 0x0
	s_clause 0x4
	s_load_b128 s[24:27], s[0:1], 0x80
	s_load_b64 s[2:3], s[0:1], 0x0
	s_load_b32 s18, s[0:1], 0x38
	s_load_b64 s[14:15], s[0:1], 0x10
	s_load_b64 s[0:1], s[0:1], 0x90
	s_waitcnt lgkmcnt(0)
	v_mul_hi_u32 v1, s39, v5
	v_mov_b32_e32 v2, 0
	v_mul_hi_u32 v6, s42, v4
	v_mul_hi_u32 v7, s36, v3
	v_mul_lo_u32 v8, v4, s10
	v_mul_lo_u32 v9, v5, s9
	v_mul_lo_u32 v10, v3, s8
	v_mul_lo_u32 v13, v5, s5
	v_add_nc_u32_e32 v1, v5, v1
	v_mul_lo_u32 v12, v4, s6
	v_add_nc_u32_e32 v6, v4, v6
	v_add_nc_u32_e32 v7, v3, v7
	v_mul_lo_u32 v14, v3, s4
	v_lshrrev_b32_e32 v1, s40, v1
	s_cmp_lg_u64 s[2:3], 0
	s_delay_alu instid0(VALU_DEP_3) | instskip(NEXT) | instid1(VALU_DEP_2)
	v_lshrrev_b32_e32 v7, s37, v7
	v_mul_lo_u32 v11, v1, s41
	v_add3_u32 v1, v9, v10, v8
	s_delay_alu instid0(VALU_DEP_3) | instskip(NEXT) | instid1(VALU_DEP_3)
	v_mul_lo_u32 v7, v7, s38
	v_sub_nc_u32_e32 v8, v5, v11
	v_mov_b32_e32 v5, v2
	v_lshrrev_b32_e32 v6, s43, v6
	s_delay_alu instid0(VALU_DEP_4) | instskip(NEXT) | instid1(VALU_DEP_2)
	v_sub_nc_u32_e32 v3, v3, v7
	v_mul_lo_u32 v6, v6, s13
	s_delay_alu instid0(VALU_DEP_2) | instskip(SKIP_1) | instid1(VALU_DEP_3)
	v_mul_lo_u32 v9, v3, s24
	v_mul_lo_u32 v3, s7, v0
	v_sub_nc_u32_e32 v4, v4, v6
	v_lshlrev_b64 v[6:7], 1, v[1:2]
	v_mul_lo_u32 v1, v8, s25
	s_delay_alu instid0(VALU_DEP_3) | instskip(SKIP_1) | instid1(VALU_DEP_4)
	v_mul_lo_u32 v8, v4, s26
	v_add3_u32 v4, v13, v14, v12
	v_add_co_u32 v10, vcc_lo, s2, v6
	v_add_co_ci_u32_e32 v6, vcc_lo, s3, v7, vcc_lo
	s_cselect_b32 vcc_lo, -1, 0
	s_mul_i32 s2, s17, s12
	s_delay_alu instid0(VALU_DEP_4) | instskip(NEXT) | instid1(VALU_DEP_2)
	v_add3_u32 v1, v1, v8, v9
	v_cndmask_b32_e32 v6, 0, v6, vcc_lo
	v_lshlrev_b64 v[7:8], 2, v[4:5]
	v_cndmask_b32_e32 v5, 0, v10, vcc_lo
	s_mov_b32 s3, 0
	v_lshlrev_b64 v[9:10], 2, v[1:2]
	s_mul_i32 s4, s2, s7
	s_sub_i32 s5, 0, s18
	v_add_co_u32 v7, vcc_lo, s14, v7
	v_add_co_ci_u32_e32 v8, vcc_lo, s15, v8, vcc_lo
	s_delay_alu instid0(VALU_DEP_3)
	v_add_co_u32 v9, s0, s0, v9
	v_cmp_ne_u64_e32 vcc_lo, 0, v[5:6]
	v_add_co_ci_u32_e64 v10, s0, s1, v10, s0
	s_set_inst_prefetch_distance 0x1
	s_branch .LBB31_4
	.p2align	6
.LBB31_3:                               ;   in Loop: Header=BB31_4 Depth=1
	s_or_b32 exec_lo, exec_lo, s1
	v_mul_hi_u32 v1, s22, v0
	v_add_nc_u32_e32 v3, s4, v3
	s_delay_alu instid0(VALU_DEP_2) | instskip(NEXT) | instid1(VALU_DEP_1)
	v_add_nc_u32_e32 v1, v0, v1
	v_lshrrev_b32_e32 v1, s23, v1
	s_delay_alu instid0(VALU_DEP_1) | instskip(NEXT) | instid1(VALU_DEP_1)
	v_mad_u64_u32 v[11:12], null, s5, v1, v[0:1]
	v_mul_lo_u32 v1, v11, s11
	s_delay_alu instid0(VALU_DEP_1) | instskip(SKIP_1) | instid1(VALU_DEP_2)
	v_lshlrev_b64 v[11:12], 2, v[1:2]
	v_ashrrev_i32_e32 v1, 31, v0
	v_add_co_u32 v11, s0, v9, v11
	s_delay_alu instid0(VALU_DEP_1) | instskip(SKIP_3) | instid1(VALU_DEP_2)
	v_add_co_ci_u32_e64 v12, s0, v10, v12, s0
	global_load_b32 v13, v[11:12], off
	v_lshlrev_b64 v[11:12], 2, v[0:1]
	v_add_nc_u32_e32 v0, s2, v0
	v_add_co_u32 v11, s1, v7, v11
	s_delay_alu instid0(VALU_DEP_1)
	v_add_co_ci_u32_e64 v12, s1, v8, v12, s1
	s_waitcnt vmcnt(0)
	v_mul_f32_e32 v1, v4, v13
	v_cmp_le_i32_e64 s0, s16, v0
	global_store_b32 v[11:12], v1, off
	s_or_b32 s3, s0, s3
	s_delay_alu instid0(SALU_CYCLE_1)
	s_and_not1_b32 exec_lo, exec_lo, s3
	s_cbranch_execz .LBB31_6
.LBB31_4:                               ; =>This Inner Loop Header: Depth=1
	v_mov_b32_e32 v4, 0
	s_and_saveexec_b32 s1, vcc_lo
	s_cbranch_execz .LBB31_3
; %bb.5:                                ;   in Loop: Header=BB31_4 Depth=1
	v_ashrrev_i32_e32 v4, 31, v3
	s_delay_alu instid0(VALU_DEP_1) | instskip(NEXT) | instid1(VALU_DEP_1)
	v_lshlrev_b64 v[11:12], 1, v[3:4]
	v_add_co_u32 v11, s0, v5, v11
	s_delay_alu instid0(VALU_DEP_1)
	v_add_co_ci_u32_e64 v12, s0, v6, v12, s0
	global_load_u16 v1, v[11:12], off
	s_waitcnt vmcnt(0)
	v_cvt_f32_f16_e32 v4, v1
	s_branch .LBB31_3
.LBB31_6:
	s_set_inst_prefetch_distance 0x2
	s_nop 0
	s_sendmsg sendmsg(MSG_DEALLOC_VGPRS)
	s_endpgm
	.section	.rodata,"a",@progbits
	.p2align	6, 0x0
	.amdhsa_kernel _ZL11k_bin_bcastIXadL_ZL6op_mulffEE6__halfffJPKfEEvPKT0_PKT1_PT2_iii15HIP_vector_typeIjLj3EESC_SC_SC_SC_iiiiiiiiiiiDpT3_
		.amdhsa_group_segment_fixed_size 0
		.amdhsa_private_segment_fixed_size 0
		.amdhsa_kernarg_size 408
		.amdhsa_user_sgpr_count 13
		.amdhsa_user_sgpr_dispatch_ptr 0
		.amdhsa_user_sgpr_queue_ptr 0
		.amdhsa_user_sgpr_kernarg_segment_ptr 1
		.amdhsa_user_sgpr_dispatch_id 0
		.amdhsa_user_sgpr_private_segment_size 0
		.amdhsa_wavefront_size32 1
		.amdhsa_uses_dynamic_stack 0
		.amdhsa_enable_private_segment 0
		.amdhsa_system_sgpr_workgroup_id_x 1
		.amdhsa_system_sgpr_workgroup_id_y 1
		.amdhsa_system_sgpr_workgroup_id_z 1
		.amdhsa_system_sgpr_workgroup_info 0
		.amdhsa_system_vgpr_workitem_id 2
		.amdhsa_next_free_vgpr 15
		.amdhsa_next_free_sgpr 44
		.amdhsa_reserve_vcc 1
		.amdhsa_float_round_mode_32 0
		.amdhsa_float_round_mode_16_64 0
		.amdhsa_float_denorm_mode_32 3
		.amdhsa_float_denorm_mode_16_64 3
		.amdhsa_dx10_clamp 1
		.amdhsa_ieee_mode 1
		.amdhsa_fp16_overflow 0
		.amdhsa_workgroup_processor_mode 1
		.amdhsa_memory_ordered 1
		.amdhsa_forward_progress 0
		.amdhsa_shared_vgpr_count 0
		.amdhsa_exception_fp_ieee_invalid_op 0
		.amdhsa_exception_fp_denorm_src 0
		.amdhsa_exception_fp_ieee_div_zero 0
		.amdhsa_exception_fp_ieee_overflow 0
		.amdhsa_exception_fp_ieee_underflow 0
		.amdhsa_exception_fp_ieee_inexact 0
		.amdhsa_exception_int_div_zero 0
	.end_amdhsa_kernel
	.section	.text._ZL11k_bin_bcastIXadL_ZL6op_mulffEE6__halfffJPKfEEvPKT0_PKT1_PT2_iii15HIP_vector_typeIjLj3EESC_SC_SC_SC_iiiiiiiiiiiDpT3_,"axG",@progbits,_ZL11k_bin_bcastIXadL_ZL6op_mulffEE6__halfffJPKfEEvPKT0_PKT1_PT2_iii15HIP_vector_typeIjLj3EESC_SC_SC_SC_iiiiiiiiiiiDpT3_,comdat
.Lfunc_end31:
	.size	_ZL11k_bin_bcastIXadL_ZL6op_mulffEE6__halfffJPKfEEvPKT0_PKT1_PT2_iii15HIP_vector_typeIjLj3EESC_SC_SC_SC_iiiiiiiiiiiDpT3_, .Lfunc_end31-_ZL11k_bin_bcastIXadL_ZL6op_mulffEE6__halfffJPKfEEvPKT0_PKT1_PT2_iii15HIP_vector_typeIjLj3EESC_SC_SC_SC_iiiiiiiiiiiDpT3_
                                        ; -- End function
	.section	.AMDGPU.csdata,"",@progbits
; Kernel info:
; codeLenInByte = 880
; NumSgprs: 46
; NumVgprs: 15
; ScratchSize: 0
; MemoryBound: 0
; FloatMode: 240
; IeeeMode: 1
; LDSByteSize: 0 bytes/workgroup (compile time only)
; SGPRBlocks: 5
; VGPRBlocks: 1
; NumSGPRsForWavesPerEU: 46
; NumVGPRsForWavesPerEU: 15
; Occupancy: 16
; WaveLimiterHint : 1
; COMPUTE_PGM_RSRC2:SCRATCH_EN: 0
; COMPUTE_PGM_RSRC2:USER_SGPR: 13
; COMPUTE_PGM_RSRC2:TRAP_HANDLER: 0
; COMPUTE_PGM_RSRC2:TGID_X_EN: 1
; COMPUTE_PGM_RSRC2:TGID_Y_EN: 1
; COMPUTE_PGM_RSRC2:TGID_Z_EN: 1
; COMPUTE_PGM_RSRC2:TIDIG_COMP_CNT: 2
	.section	.text._ZL19k_bin_bcast_unravelIXadL_ZL6op_divffEEfffJPKfEEvPKT0_PKT1_PT2_15HIP_vector_typeIjLj3EESB_SB_jSB_SB_SB_SB_SB_SB_iiiiiiiiiiiDpT3_,"axG",@progbits,_ZL19k_bin_bcast_unravelIXadL_ZL6op_divffEEfffJPKfEEvPKT0_PKT1_PT2_15HIP_vector_typeIjLj3EESB_SB_jSB_SB_SB_SB_SB_SB_iiiiiiiiiiiDpT3_,comdat
	.globl	_ZL19k_bin_bcast_unravelIXadL_ZL6op_divffEEfffJPKfEEvPKT0_PKT1_PT2_15HIP_vector_typeIjLj3EESB_SB_jSB_SB_SB_SB_SB_SB_iiiiiiiiiiiDpT3_ ; -- Begin function _ZL19k_bin_bcast_unravelIXadL_ZL6op_divffEEfffJPKfEEvPKT0_PKT1_PT2_15HIP_vector_typeIjLj3EESB_SB_jSB_SB_SB_SB_SB_SB_iiiiiiiiiiiDpT3_
	.p2align	8
	.type	_ZL19k_bin_bcast_unravelIXadL_ZL6op_divffEEfffJPKfEEvPKT0_PKT1_PT2_15HIP_vector_typeIjLj3EESB_SB_jSB_SB_SB_SB_SB_SB_iiiiiiiiiiiDpT3_,@function
_ZL19k_bin_bcast_unravelIXadL_ZL6op_divffEEfffJPKfEEvPKT0_PKT1_PT2_15HIP_vector_typeIjLj3EESB_SB_jSB_SB_SB_SB_SB_SB_iiiiiiiiiiiDpT3_: ; @_ZL19k_bin_bcast_unravelIXadL_ZL6op_divffEEfffJPKfEEvPKT0_PKT1_PT2_15HIP_vector_typeIjLj3EESB_SB_jSB_SB_SB_SB_SB_SB_iiiiiiiiiiiDpT3_
; %bb.0:
	s_clause 0x1
	s_load_b32 s2, s[0:1], 0xcc
	s_load_b256 s[4:11], s[0:1], 0x38
	s_waitcnt lgkmcnt(0)
	s_and_b32 s2, s2, 0xffff
	s_delay_alu instid0(SALU_CYCLE_1) | instskip(SKIP_3) | instid1(VALU_DEP_1)
	v_mad_u64_u32 v[2:3], null, s15, s2, v[0:1]
	s_clause 0x1
	s_load_b128 s[12:15], s[0:1], 0x18
	s_load_b32 s2, s[0:1], 0x2c
	v_mul_hi_u32 v0, v2, s6
	s_delay_alu instid0(VALU_DEP_1) | instskip(NEXT) | instid1(VALU_DEP_1)
	v_add_nc_u32_e32 v0, v2, v0
	v_lshrrev_b32_e32 v1, s7, v0
	s_delay_alu instid0(VALU_DEP_1) | instskip(NEXT) | instid1(VALU_DEP_1)
	v_mul_lo_u32 v0, v1, s8
	v_sub_nc_u32_e32 v0, v2, v0
	s_delay_alu instid0(VALU_DEP_1) | instskip(NEXT) | instid1(VALU_DEP_1)
	v_mul_hi_u32 v2, v0, s9
	v_add_nc_u32_e32 v2, v0, v2
	s_delay_alu instid0(VALU_DEP_1) | instskip(NEXT) | instid1(VALU_DEP_1)
	v_lshrrev_b32_e32 v2, s10, v2
	v_mul_lo_u32 v3, v2, s11
	v_cmp_gt_u32_e64 s3, s4, v2
	v_cmp_gt_u32_e64 s4, s5, v1
	s_delay_alu instid0(VALU_DEP_3) | instskip(SKIP_1) | instid1(VALU_DEP_1)
	v_sub_nc_u32_e32 v0, v0, v3
	s_waitcnt lgkmcnt(0)
	v_mul_hi_u32 v3, v0, s12
	s_delay_alu instid0(VALU_DEP_1) | instskip(NEXT) | instid1(VALU_DEP_1)
	v_add_nc_u32_e32 v3, v0, v3
	v_lshrrev_b32_e32 v3, s13, v3
	s_delay_alu instid0(VALU_DEP_1) | instskip(SKIP_1) | instid1(VALU_DEP_2)
	v_mul_lo_u32 v4, v3, s14
	v_cmp_gt_u32_e64 s2, s2, v3
	v_sub_nc_u32_e32 v0, v0, v4
	s_delay_alu instid0(VALU_DEP_1) | instskip(NEXT) | instid1(VALU_DEP_3)
	v_cmp_gt_u32_e32 vcc_lo, s14, v0
	s_and_b32 s2, vcc_lo, s2
	s_delay_alu instid0(SALU_CYCLE_1) | instskip(NEXT) | instid1(SALU_CYCLE_1)
	s_and_b32 s2, s2, s3
	s_and_b32 s2, s4, s2
	s_delay_alu instid0(SALU_CYCLE_1)
	s_and_saveexec_b32 s3, s2
	s_cbranch_execz .LBB32_5
; %bb.1:
	s_clause 0x4
	s_load_b64 s[2:3], s[0:1], 0x0
	s_load_b128 s[20:23], s[0:1], 0xa8
	s_load_b256 s[4:11], s[0:1], 0x88
	s_load_b128 s[24:27], s[0:1], 0x78
	s_load_b256 s[12:19], s[0:1], 0x58
	s_waitcnt lgkmcnt(0)
	s_cmp_eq_u64 s[2:3], 0
	s_cbranch_scc1 .LBB32_3
; %bb.2:
	v_mul_lo_u32 v4, v1, s10
	v_mul_lo_u32 v6, v2, s9
	v_mul_lo_u32 v7, v3, s8
	v_mov_b32_e32 v5, 0
	s_delay_alu instid0(VALU_DEP_2) | instskip(NEXT) | instid1(VALU_DEP_1)
	v_add3_u32 v4, v6, v4, v7
	v_lshlrev_b64 v[6:7], 2, v[4:5]
	v_mul_lo_u32 v4, v0, s7
	s_delay_alu instid0(VALU_DEP_2) | instskip(NEXT) | instid1(VALU_DEP_3)
	v_add_co_u32 v6, vcc_lo, s2, v6
	v_add_co_ci_u32_e32 v7, vcc_lo, s3, v7, vcc_lo
	s_delay_alu instid0(VALU_DEP_3) | instskip(NEXT) | instid1(VALU_DEP_1)
	v_lshlrev_b64 v[4:5], 2, v[4:5]
	v_add_co_u32 v4, vcc_lo, v6, v4
	s_delay_alu instid0(VALU_DEP_2)
	v_add_co_ci_u32_e32 v5, vcc_lo, v7, v5, vcc_lo
	global_load_b32 v4, v[4:5], off
	s_branch .LBB32_4
.LBB32_3:
	v_mov_b32_e32 v4, 0
.LBB32_4:
	v_mul_hi_u32 v7, s15, v3
	v_mul_hi_u32 v5, s25, v1
	v_mul_hi_u32 v6, s18, v2
	v_mul_hi_u32 v8, s12, v0
	v_mul_lo_u32 v10, v3, s4
	s_clause 0x1
	s_load_b64 s[2:3], s[0:1], 0xb8
	s_load_b64 s[0:1], s[0:1], 0x10
	v_add_nc_u32_e32 v7, v3, v7
	v_add_nc_u32_e32 v5, v1, v5
	;; [unrolled: 1-line block ×4, first 2 shown]
	s_delay_alu instid0(VALU_DEP_4) | instskip(NEXT) | instid1(VALU_DEP_4)
	v_lshrrev_b32_e32 v7, s16, v7
	v_lshrrev_b32_e32 v5, s26, v5
	s_delay_alu instid0(VALU_DEP_4) | instskip(NEXT) | instid1(VALU_DEP_3)
	v_lshrrev_b32_e32 v6, s19, v6
	v_mul_lo_u32 v7, v7, s17
	s_delay_alu instid0(VALU_DEP_3) | instskip(NEXT) | instid1(VALU_DEP_3)
	v_mul_lo_u32 v5, v5, s27
	v_mul_lo_u32 v6, v6, s24
	s_delay_alu instid0(VALU_DEP_3)
	v_sub_nc_u32_e32 v7, v3, v7
	v_mov_b32_e32 v3, 0
	v_lshrrev_b32_e32 v8, s13, v8
	v_sub_nc_u32_e32 v5, v1, v5
	v_sub_nc_u32_e32 v6, v2, v6
	v_mul_lo_u32 v7, v7, s20
	v_mul_lo_u32 v1, v1, s6
	;; [unrolled: 1-line block ×6, first 2 shown]
	s_delay_alu instid0(VALU_DEP_4) | instskip(NEXT) | instid1(VALU_DEP_3)
	v_sub_nc_u32_e32 v8, v0, v8
	v_add3_u32 v5, v6, v5, v7
	s_delay_alu instid0(VALU_DEP_3) | instskip(SKIP_1) | instid1(VALU_DEP_4)
	v_add3_u32 v2, v2, v1, v10
	v_mov_b32_e32 v1, v3
	v_mul_lo_u32 v7, v8, s11
	s_delay_alu instid0(VALU_DEP_4) | instskip(NEXT) | instid1(VALU_DEP_4)
	v_ashrrev_i32_e32 v6, 31, v5
	v_lshlrev_b64 v[2:3], 2, v[2:3]
	s_delay_alu instid0(VALU_DEP_4) | instskip(NEXT) | instid1(VALU_DEP_3)
	v_lshlrev_b64 v[0:1], 2, v[0:1]
	v_lshlrev_b64 v[5:6], 2, v[5:6]
	v_ashrrev_i32_e32 v8, 31, v7
	s_delay_alu instid0(VALU_DEP_1) | instskip(SKIP_1) | instid1(VALU_DEP_3)
	v_lshlrev_b64 v[7:8], 2, v[7:8]
	s_waitcnt lgkmcnt(0)
	v_add_co_u32 v5, vcc_lo, s2, v5
	s_delay_alu instid0(VALU_DEP_4) | instskip(NEXT) | instid1(VALU_DEP_2)
	v_add_co_ci_u32_e32 v6, vcc_lo, s3, v6, vcc_lo
	v_add_co_u32 v5, vcc_lo, v5, v7
	s_delay_alu instid0(VALU_DEP_2) | instskip(SKIP_4) | instid1(VALU_DEP_2)
	v_add_co_ci_u32_e32 v6, vcc_lo, v6, v8, vcc_lo
	global_load_b32 v5, v[5:6], off
	s_waitcnt vmcnt(0)
	v_div_scale_f32 v6, null, v5, v5, v4
	v_div_scale_f32 v9, vcc_lo, v4, v5, v4
	v_rcp_f32_e32 v7, v6
	s_waitcnt_depctr 0xfff
	v_fma_f32 v8, -v6, v7, 1.0
	s_delay_alu instid0(VALU_DEP_1) | instskip(NEXT) | instid1(VALU_DEP_1)
	v_fmac_f32_e32 v7, v8, v7
	v_mul_f32_e32 v8, v9, v7
	s_delay_alu instid0(VALU_DEP_1) | instskip(NEXT) | instid1(VALU_DEP_1)
	v_fma_f32 v11, -v6, v8, v9
	v_fmac_f32_e32 v8, v11, v7
	s_delay_alu instid0(VALU_DEP_1) | instskip(NEXT) | instid1(VALU_DEP_1)
	v_fma_f32 v6, -v6, v8, v9
	v_div_fmas_f32 v6, v6, v7, v8
	v_add_co_u32 v2, vcc_lo, s0, v2
	v_add_co_ci_u32_e32 v3, vcc_lo, s1, v3, vcc_lo
	s_delay_alu instid0(VALU_DEP_3) | instskip(NEXT) | instid1(VALU_DEP_3)
	v_div_fixup_f32 v4, v6, v5, v4
	v_add_co_u32 v0, vcc_lo, v2, v0
	s_delay_alu instid0(VALU_DEP_3)
	v_add_co_ci_u32_e32 v1, vcc_lo, v3, v1, vcc_lo
	global_store_b32 v[0:1], v4, off
.LBB32_5:
	s_nop 0
	s_sendmsg sendmsg(MSG_DEALLOC_VGPRS)
	s_endpgm
	.section	.rodata,"a",@progbits
	.p2align	6, 0x0
	.amdhsa_kernel _ZL19k_bin_bcast_unravelIXadL_ZL6op_divffEEfffJPKfEEvPKT0_PKT1_PT2_15HIP_vector_typeIjLj3EESB_SB_jSB_SB_SB_SB_SB_SB_iiiiiiiiiiiDpT3_
		.amdhsa_group_segment_fixed_size 0
		.amdhsa_private_segment_fixed_size 0
		.amdhsa_kernarg_size 448
		.amdhsa_user_sgpr_count 15
		.amdhsa_user_sgpr_dispatch_ptr 0
		.amdhsa_user_sgpr_queue_ptr 0
		.amdhsa_user_sgpr_kernarg_segment_ptr 1
		.amdhsa_user_sgpr_dispatch_id 0
		.amdhsa_user_sgpr_private_segment_size 0
		.amdhsa_wavefront_size32 1
		.amdhsa_uses_dynamic_stack 0
		.amdhsa_enable_private_segment 0
		.amdhsa_system_sgpr_workgroup_id_x 1
		.amdhsa_system_sgpr_workgroup_id_y 0
		.amdhsa_system_sgpr_workgroup_id_z 0
		.amdhsa_system_sgpr_workgroup_info 0
		.amdhsa_system_vgpr_workitem_id 0
		.amdhsa_next_free_vgpr 12
		.amdhsa_next_free_sgpr 28
		.amdhsa_reserve_vcc 1
		.amdhsa_float_round_mode_32 0
		.amdhsa_float_round_mode_16_64 0
		.amdhsa_float_denorm_mode_32 3
		.amdhsa_float_denorm_mode_16_64 3
		.amdhsa_dx10_clamp 1
		.amdhsa_ieee_mode 1
		.amdhsa_fp16_overflow 0
		.amdhsa_workgroup_processor_mode 1
		.amdhsa_memory_ordered 1
		.amdhsa_forward_progress 0
		.amdhsa_shared_vgpr_count 0
		.amdhsa_exception_fp_ieee_invalid_op 0
		.amdhsa_exception_fp_denorm_src 0
		.amdhsa_exception_fp_ieee_div_zero 0
		.amdhsa_exception_fp_ieee_overflow 0
		.amdhsa_exception_fp_ieee_underflow 0
		.amdhsa_exception_fp_ieee_inexact 0
		.amdhsa_exception_int_div_zero 0
	.end_amdhsa_kernel
	.section	.text._ZL19k_bin_bcast_unravelIXadL_ZL6op_divffEEfffJPKfEEvPKT0_PKT1_PT2_15HIP_vector_typeIjLj3EESB_SB_jSB_SB_SB_SB_SB_SB_iiiiiiiiiiiDpT3_,"axG",@progbits,_ZL19k_bin_bcast_unravelIXadL_ZL6op_divffEEfffJPKfEEvPKT0_PKT1_PT2_15HIP_vector_typeIjLj3EESB_SB_jSB_SB_SB_SB_SB_SB_iiiiiiiiiiiDpT3_,comdat
.Lfunc_end32:
	.size	_ZL19k_bin_bcast_unravelIXadL_ZL6op_divffEEfffJPKfEEvPKT0_PKT1_PT2_15HIP_vector_typeIjLj3EESB_SB_jSB_SB_SB_SB_SB_SB_iiiiiiiiiiiDpT3_, .Lfunc_end32-_ZL19k_bin_bcast_unravelIXadL_ZL6op_divffEEfffJPKfEEvPKT0_PKT1_PT2_15HIP_vector_typeIjLj3EESB_SB_jSB_SB_SB_SB_SB_SB_iiiiiiiiiiiDpT3_
                                        ; -- End function
	.section	.AMDGPU.csdata,"",@progbits
; Kernel info:
; codeLenInByte = 888
; NumSgprs: 30
; NumVgprs: 12
; ScratchSize: 0
; MemoryBound: 0
; FloatMode: 240
; IeeeMode: 1
; LDSByteSize: 0 bytes/workgroup (compile time only)
; SGPRBlocks: 3
; VGPRBlocks: 1
; NumSGPRsForWavesPerEU: 30
; NumVGPRsForWavesPerEU: 12
; Occupancy: 16
; WaveLimiterHint : 1
; COMPUTE_PGM_RSRC2:SCRATCH_EN: 0
; COMPUTE_PGM_RSRC2:USER_SGPR: 15
; COMPUTE_PGM_RSRC2:TRAP_HANDLER: 0
; COMPUTE_PGM_RSRC2:TGID_X_EN: 1
; COMPUTE_PGM_RSRC2:TGID_Y_EN: 0
; COMPUTE_PGM_RSRC2:TGID_Z_EN: 0
; COMPUTE_PGM_RSRC2:TIDIG_COMP_CNT: 0
	.section	.text._ZL11k_bin_bcastIXadL_ZL6op_divffEEfffJPKfEEvPKT0_PKT1_PT2_iii15HIP_vector_typeIjLj3EESB_SB_SB_SB_iiiiiiiiiiiDpT3_,"axG",@progbits,_ZL11k_bin_bcastIXadL_ZL6op_divffEEfffJPKfEEvPKT0_PKT1_PT2_iii15HIP_vector_typeIjLj3EESB_SB_SB_SB_iiiiiiiiiiiDpT3_,comdat
	.globl	_ZL11k_bin_bcastIXadL_ZL6op_divffEEfffJPKfEEvPKT0_PKT1_PT2_iii15HIP_vector_typeIjLj3EESB_SB_SB_SB_iiiiiiiiiiiDpT3_ ; -- Begin function _ZL11k_bin_bcastIXadL_ZL6op_divffEEfffJPKfEEvPKT0_PKT1_PT2_iii15HIP_vector_typeIjLj3EESB_SB_SB_SB_iiiiiiiiiiiDpT3_
	.p2align	8
	.type	_ZL11k_bin_bcastIXadL_ZL6op_divffEEfffJPKfEEvPKT0_PKT1_PT2_iii15HIP_vector_typeIjLj3EESB_SB_SB_SB_iiiiiiiiiiiDpT3_,@function
_ZL11k_bin_bcastIXadL_ZL6op_divffEEfffJPKfEEvPKT0_PKT1_PT2_iii15HIP_vector_typeIjLj3EESB_SB_SB_SB_iiiiiiiiiiiDpT3_: ; @_ZL11k_bin_bcastIXadL_ZL6op_divffEEfffJPKfEEvPKT0_PKT1_PT2_iii15HIP_vector_typeIjLj3EESB_SB_SB_SB_iiiiiiiiiiiDpT3_
; %bb.0:
	s_clause 0x1
	s_load_b64 s[2:3], s[0:1], 0xa4
	s_load_b256 s[16:23], s[0:1], 0x18
	v_bfe_u32 v1, v0, 20, 10
	s_add_u32 s24, s0, 0x98
	s_addc_u32 s25, s1, 0
	v_bfe_u32 v6, v0, 10, 10
	s_waitcnt lgkmcnt(0)
	s_and_b32 s3, s3, 0xffff
	s_and_b32 s12, s2, 0xffff
	v_mad_u64_u32 v[2:3], null, s15, s3, v[1:2]
	v_and_b32_e32 v3, 0x3ff, v0
	s_lshr_b32 s3, s2, 16
	s_delay_alu instid0(VALU_DEP_2) | instskip(NEXT) | instid1(VALU_DEP_1)
	v_mul_hi_u32 v1, v2, s19
	v_add_nc_u32_e32 v1, v2, v1
	s_delay_alu instid0(VALU_DEP_1) | instskip(SKIP_2) | instid1(VALU_DEP_3)
	v_lshrrev_b32_e32 v5, s20, v1
	v_mad_u64_u32 v[0:1], null, s13, s12, v[3:4]
	v_mad_u64_u32 v[3:4], null, s14, s3, v[6:7]
	v_mul_lo_u32 v1, v5, s21
	v_cmp_gt_u32_e64 s3, s18, v5
	s_delay_alu instid0(VALU_DEP_4) | instskip(NEXT) | instid1(VALU_DEP_4)
	v_cmp_gt_u32_e32 vcc_lo, s16, v0
	v_cmp_gt_u32_e64 s2, s17, v3
	s_delay_alu instid0(VALU_DEP_4) | instskip(NEXT) | instid1(VALU_DEP_2)
	v_sub_nc_u32_e32 v4, v2, v1
	s_and_b32 s2, vcc_lo, s2
	s_delay_alu instid0(SALU_CYCLE_1) | instskip(NEXT) | instid1(VALU_DEP_1)
	s_and_b32 s2, s2, s3
	v_cmp_gt_u32_e64 s4, s21, v4
	s_delay_alu instid0(VALU_DEP_1) | instskip(NEXT) | instid1(SALU_CYCLE_1)
	s_and_b32 s2, s2, s4
	s_and_saveexec_b32 s3, s2
	s_cbranch_execz .LBB33_6
; %bb.1:
	v_cmp_gt_i32_e32 vcc_lo, s16, v0
	s_and_b32 exec_lo, exec_lo, vcc_lo
	s_cbranch_execz .LBB33_6
; %bb.2:
	s_clause 0x2
	s_load_b256 s[36:43], s[0:1], 0x3c
	s_load_b256 s[4:11], s[0:1], 0x60
	s_load_b32 s13, s[0:1], 0x5c
	s_load_b32 s17, s[24:25], 0x0
	s_clause 0x3
	s_load_b128 s[24:27], s[0:1], 0x80
	s_load_b64 s[2:3], s[0:1], 0x0
	s_load_b32 s18, s[0:1], 0x38
	s_load_b64 s[14:15], s[0:1], 0x10
	s_waitcnt lgkmcnt(0)
	v_mul_hi_u32 v1, s39, v5
	v_mov_b32_e32 v2, 0
	v_mul_hi_u32 v6, s42, v4
	v_mul_hi_u32 v7, s36, v3
	v_mul_lo_u32 v8, v4, s10
	v_mul_lo_u32 v9, v5, s9
	;; [unrolled: 1-line block ×4, first 2 shown]
	v_add_nc_u32_e32 v1, v5, v1
	v_mul_lo_u32 v12, v4, s6
	v_add_nc_u32_e32 v6, v4, v6
	v_add_nc_u32_e32 v7, v3, v7
	v_mul_lo_u32 v14, v3, s4
	v_lshrrev_b32_e32 v1, s40, v1
	s_load_b64 s[8:9], s[0:1], 0x90
	s_cmp_lg_u64 s[2:3], 0
	v_lshrrev_b32_e32 v7, s37, v7
	s_delay_alu instid0(VALU_DEP_2) | instskip(SKIP_1) | instid1(VALU_DEP_3)
	v_mul_lo_u32 v11, v1, s41
	v_add3_u32 v1, v9, v10, v8
	v_mul_lo_u32 v7, v7, s38
	s_delay_alu instid0(VALU_DEP_3) | instskip(SKIP_2) | instid1(VALU_DEP_4)
	v_sub_nc_u32_e32 v8, v5, v11
	v_mov_b32_e32 v5, v2
	v_lshrrev_b32_e32 v6, s43, v6
	v_sub_nc_u32_e32 v3, v3, v7
	s_delay_alu instid0(VALU_DEP_2) | instskip(NEXT) | instid1(VALU_DEP_2)
	v_mul_lo_u32 v6, v6, s13
	v_mul_lo_u32 v9, v3, s24
	;; [unrolled: 1-line block ×3, first 2 shown]
	s_delay_alu instid0(VALU_DEP_3) | instskip(SKIP_2) | instid1(VALU_DEP_3)
	v_sub_nc_u32_e32 v4, v4, v6
	v_lshlrev_b64 v[6:7], 2, v[1:2]
	v_mul_lo_u32 v1, v8, s25
	v_mul_lo_u32 v8, v4, s26
	v_add3_u32 v4, v13, v14, v12
	s_delay_alu instid0(VALU_DEP_4) | instskip(SKIP_3) | instid1(VALU_DEP_4)
	v_add_co_u32 v10, vcc_lo, s2, v6
	v_add_co_ci_u32_e32 v6, vcc_lo, s3, v7, vcc_lo
	s_cselect_b32 vcc_lo, -1, 0
	s_mul_i32 s2, s17, s12
	v_add3_u32 v1, v1, v8, v9
	s_delay_alu instid0(VALU_DEP_2)
	v_cndmask_b32_e32 v6, 0, v6, vcc_lo
	v_lshlrev_b64 v[7:8], 2, v[4:5]
	v_cndmask_b32_e32 v5, 0, v10, vcc_lo
	s_mov_b32 s3, 0
	v_lshlrev_b64 v[9:10], 2, v[1:2]
	s_mul_i32 s4, s2, s7
	s_sub_i32 s5, 0, s18
	v_add_co_u32 v7, vcc_lo, s14, v7
	v_add_co_ci_u32_e32 v8, vcc_lo, s15, v8, vcc_lo
	s_waitcnt lgkmcnt(0)
	v_add_co_u32 v9, vcc_lo, s8, v9
	v_cmp_ne_u64_e64 s0, 0, v[5:6]
	v_add_co_ci_u32_e32 v10, vcc_lo, s9, v10, vcc_lo
	s_branch .LBB33_4
.LBB33_3:                               ;   in Loop: Header=BB33_4 Depth=1
	s_or_b32 exec_lo, exec_lo, s1
	v_mul_hi_u32 v1, s22, v0
	v_add_nc_u32_e32 v3, s4, v3
	s_delay_alu instid0(VALU_DEP_2) | instskip(NEXT) | instid1(VALU_DEP_1)
	v_add_nc_u32_e32 v1, v0, v1
	v_lshrrev_b32_e32 v1, s23, v1
	s_delay_alu instid0(VALU_DEP_1) | instskip(NEXT) | instid1(VALU_DEP_1)
	v_mad_u64_u32 v[11:12], null, s5, v1, v[0:1]
	v_mul_lo_u32 v1, v11, s11
	s_delay_alu instid0(VALU_DEP_1) | instskip(NEXT) | instid1(VALU_DEP_1)
	v_lshlrev_b64 v[11:12], 2, v[1:2]
	v_add_co_u32 v11, vcc_lo, v9, v11
	s_delay_alu instid0(VALU_DEP_2) | instskip(SKIP_4) | instid1(VALU_DEP_2)
	v_add_co_ci_u32_e32 v12, vcc_lo, v10, v12, vcc_lo
	global_load_b32 v13, v[11:12], off
	s_waitcnt vmcnt(0)
	v_div_scale_f32 v11, null, v13, v13, v4
	v_div_scale_f32 v12, vcc_lo, v4, v13, v4
	v_rcp_f32_e32 v14, v11
	s_waitcnt_depctr 0xfff
	v_fma_f32 v1, -v11, v14, 1.0
	s_delay_alu instid0(VALU_DEP_1) | instskip(NEXT) | instid1(VALU_DEP_1)
	v_fmac_f32_e32 v14, v1, v14
	v_mul_f32_e32 v15, v12, v14
	s_delay_alu instid0(VALU_DEP_1) | instskip(NEXT) | instid1(VALU_DEP_1)
	v_fma_f32 v1, -v11, v15, v12
	v_fmac_f32_e32 v15, v1, v14
	v_ashrrev_i32_e32 v1, 31, v0
	s_delay_alu instid0(VALU_DEP_2) | instskip(NEXT) | instid1(VALU_DEP_2)
	v_fma_f32 v16, -v11, v15, v12
	v_lshlrev_b64 v[11:12], 2, v[0:1]
	v_add_nc_u32_e32 v0, s2, v0
	s_delay_alu instid0(VALU_DEP_3) | instskip(NEXT) | instid1(VALU_DEP_2)
	v_div_fmas_f32 v1, v16, v14, v15
	v_cmp_le_i32_e32 vcc_lo, s16, v0
	s_delay_alu instid0(VALU_DEP_4) | instskip(NEXT) | instid1(VALU_DEP_3)
	v_add_co_u32 v11, s1, v7, v11
	v_div_fixup_f32 v1, v1, v13, v4
	v_add_co_ci_u32_e64 v12, s1, v8, v12, s1
	s_or_b32 s3, vcc_lo, s3
	global_store_b32 v[11:12], v1, off
	s_and_not1_b32 exec_lo, exec_lo, s3
	s_cbranch_execz .LBB33_6
.LBB33_4:                               ; =>This Inner Loop Header: Depth=1
	v_mov_b32_e32 v4, 0
	s_delay_alu instid0(VALU_DEP_3)
	s_and_saveexec_b32 s1, s0
	s_cbranch_execz .LBB33_3
; %bb.5:                                ;   in Loop: Header=BB33_4 Depth=1
	v_ashrrev_i32_e32 v4, 31, v3
	s_delay_alu instid0(VALU_DEP_1) | instskip(NEXT) | instid1(VALU_DEP_1)
	v_lshlrev_b64 v[11:12], 2, v[3:4]
	v_add_co_u32 v11, vcc_lo, v5, v11
	s_delay_alu instid0(VALU_DEP_2)
	v_add_co_ci_u32_e32 v12, vcc_lo, v6, v12, vcc_lo
	global_load_b32 v4, v[11:12], off
	s_branch .LBB33_3
.LBB33_6:
	s_nop 0
	s_sendmsg sendmsg(MSG_DEALLOC_VGPRS)
	s_endpgm
	.section	.rodata,"a",@progbits
	.p2align	6, 0x0
	.amdhsa_kernel _ZL11k_bin_bcastIXadL_ZL6op_divffEEfffJPKfEEvPKT0_PKT1_PT2_iii15HIP_vector_typeIjLj3EESB_SB_SB_SB_iiiiiiiiiiiDpT3_
		.amdhsa_group_segment_fixed_size 0
		.amdhsa_private_segment_fixed_size 0
		.amdhsa_kernarg_size 408
		.amdhsa_user_sgpr_count 13
		.amdhsa_user_sgpr_dispatch_ptr 0
		.amdhsa_user_sgpr_queue_ptr 0
		.amdhsa_user_sgpr_kernarg_segment_ptr 1
		.amdhsa_user_sgpr_dispatch_id 0
		.amdhsa_user_sgpr_private_segment_size 0
		.amdhsa_wavefront_size32 1
		.amdhsa_uses_dynamic_stack 0
		.amdhsa_enable_private_segment 0
		.amdhsa_system_sgpr_workgroup_id_x 1
		.amdhsa_system_sgpr_workgroup_id_y 1
		.amdhsa_system_sgpr_workgroup_id_z 1
		.amdhsa_system_sgpr_workgroup_info 0
		.amdhsa_system_vgpr_workitem_id 2
		.amdhsa_next_free_vgpr 17
		.amdhsa_next_free_sgpr 44
		.amdhsa_reserve_vcc 1
		.amdhsa_float_round_mode_32 0
		.amdhsa_float_round_mode_16_64 0
		.amdhsa_float_denorm_mode_32 3
		.amdhsa_float_denorm_mode_16_64 3
		.amdhsa_dx10_clamp 1
		.amdhsa_ieee_mode 1
		.amdhsa_fp16_overflow 0
		.amdhsa_workgroup_processor_mode 1
		.amdhsa_memory_ordered 1
		.amdhsa_forward_progress 0
		.amdhsa_shared_vgpr_count 0
		.amdhsa_exception_fp_ieee_invalid_op 0
		.amdhsa_exception_fp_denorm_src 0
		.amdhsa_exception_fp_ieee_div_zero 0
		.amdhsa_exception_fp_ieee_overflow 0
		.amdhsa_exception_fp_ieee_underflow 0
		.amdhsa_exception_fp_ieee_inexact 0
		.amdhsa_exception_int_div_zero 0
	.end_amdhsa_kernel
	.section	.text._ZL11k_bin_bcastIXadL_ZL6op_divffEEfffJPKfEEvPKT0_PKT1_PT2_iii15HIP_vector_typeIjLj3EESB_SB_SB_SB_iiiiiiiiiiiDpT3_,"axG",@progbits,_ZL11k_bin_bcastIXadL_ZL6op_divffEEfffJPKfEEvPKT0_PKT1_PT2_iii15HIP_vector_typeIjLj3EESB_SB_SB_SB_iiiiiiiiiiiDpT3_,comdat
.Lfunc_end33:
	.size	_ZL11k_bin_bcastIXadL_ZL6op_divffEEfffJPKfEEvPKT0_PKT1_PT2_iii15HIP_vector_typeIjLj3EESB_SB_SB_SB_iiiiiiiiiiiDpT3_, .Lfunc_end33-_ZL11k_bin_bcastIXadL_ZL6op_divffEEfffJPKfEEvPKT0_PKT1_PT2_iii15HIP_vector_typeIjLj3EESB_SB_SB_SB_iiiiiiiiiiiDpT3_
                                        ; -- End function
	.section	.AMDGPU.csdata,"",@progbits
; Kernel info:
; codeLenInByte = 940
; NumSgprs: 46
; NumVgprs: 17
; ScratchSize: 0
; MemoryBound: 0
; FloatMode: 240
; IeeeMode: 1
; LDSByteSize: 0 bytes/workgroup (compile time only)
; SGPRBlocks: 5
; VGPRBlocks: 2
; NumSGPRsForWavesPerEU: 46
; NumVGPRsForWavesPerEU: 17
; Occupancy: 16
; WaveLimiterHint : 1
; COMPUTE_PGM_RSRC2:SCRATCH_EN: 0
; COMPUTE_PGM_RSRC2:USER_SGPR: 13
; COMPUTE_PGM_RSRC2:TRAP_HANDLER: 0
; COMPUTE_PGM_RSRC2:TGID_X_EN: 1
; COMPUTE_PGM_RSRC2:TGID_Y_EN: 1
; COMPUTE_PGM_RSRC2:TGID_Z_EN: 1
; COMPUTE_PGM_RSRC2:TIDIG_COMP_CNT: 2
	.section	.text._ZL19k_bin_bcast_unravelIXadL_ZL6op_divffEE6__halfS0_S0_JPKS0_EEvPKT0_PKT1_PT2_15HIP_vector_typeIjLj3EESC_SC_jSC_SC_SC_SC_SC_SC_iiiiiiiiiiiDpT3_,"axG",@progbits,_ZL19k_bin_bcast_unravelIXadL_ZL6op_divffEE6__halfS0_S0_JPKS0_EEvPKT0_PKT1_PT2_15HIP_vector_typeIjLj3EESC_SC_jSC_SC_SC_SC_SC_SC_iiiiiiiiiiiDpT3_,comdat
	.globl	_ZL19k_bin_bcast_unravelIXadL_ZL6op_divffEE6__halfS0_S0_JPKS0_EEvPKT0_PKT1_PT2_15HIP_vector_typeIjLj3EESC_SC_jSC_SC_SC_SC_SC_SC_iiiiiiiiiiiDpT3_ ; -- Begin function _ZL19k_bin_bcast_unravelIXadL_ZL6op_divffEE6__halfS0_S0_JPKS0_EEvPKT0_PKT1_PT2_15HIP_vector_typeIjLj3EESC_SC_jSC_SC_SC_SC_SC_SC_iiiiiiiiiiiDpT3_
	.p2align	8
	.type	_ZL19k_bin_bcast_unravelIXadL_ZL6op_divffEE6__halfS0_S0_JPKS0_EEvPKT0_PKT1_PT2_15HIP_vector_typeIjLj3EESC_SC_jSC_SC_SC_SC_SC_SC_iiiiiiiiiiiDpT3_,@function
_ZL19k_bin_bcast_unravelIXadL_ZL6op_divffEE6__halfS0_S0_JPKS0_EEvPKT0_PKT1_PT2_15HIP_vector_typeIjLj3EESC_SC_jSC_SC_SC_SC_SC_SC_iiiiiiiiiiiDpT3_: ; @_ZL19k_bin_bcast_unravelIXadL_ZL6op_divffEE6__halfS0_S0_JPKS0_EEvPKT0_PKT1_PT2_15HIP_vector_typeIjLj3EESC_SC_jSC_SC_SC_SC_SC_SC_iiiiiiiiiiiDpT3_
; %bb.0:
	s_clause 0x1
	s_load_b32 s2, s[0:1], 0xcc
	s_load_b256 s[4:11], s[0:1], 0x38
	s_waitcnt lgkmcnt(0)
	s_and_b32 s2, s2, 0xffff
	s_delay_alu instid0(SALU_CYCLE_1) | instskip(SKIP_3) | instid1(VALU_DEP_1)
	v_mad_u64_u32 v[2:3], null, s15, s2, v[0:1]
	s_clause 0x1
	s_load_b128 s[12:15], s[0:1], 0x18
	s_load_b32 s2, s[0:1], 0x2c
	v_mul_hi_u32 v0, v2, s6
	s_delay_alu instid0(VALU_DEP_1) | instskip(NEXT) | instid1(VALU_DEP_1)
	v_add_nc_u32_e32 v0, v2, v0
	v_lshrrev_b32_e32 v1, s7, v0
	s_delay_alu instid0(VALU_DEP_1) | instskip(NEXT) | instid1(VALU_DEP_1)
	v_mul_lo_u32 v0, v1, s8
	v_sub_nc_u32_e32 v0, v2, v0
	s_delay_alu instid0(VALU_DEP_1) | instskip(NEXT) | instid1(VALU_DEP_1)
	v_mul_hi_u32 v2, v0, s9
	v_add_nc_u32_e32 v2, v0, v2
	s_delay_alu instid0(VALU_DEP_1) | instskip(NEXT) | instid1(VALU_DEP_1)
	v_lshrrev_b32_e32 v2, s10, v2
	v_mul_lo_u32 v3, v2, s11
	v_cmp_gt_u32_e64 s3, s4, v2
	v_cmp_gt_u32_e64 s4, s5, v1
	s_delay_alu instid0(VALU_DEP_3) | instskip(SKIP_1) | instid1(VALU_DEP_1)
	v_sub_nc_u32_e32 v0, v0, v3
	s_waitcnt lgkmcnt(0)
	v_mul_hi_u32 v3, v0, s12
	s_delay_alu instid0(VALU_DEP_1) | instskip(NEXT) | instid1(VALU_DEP_1)
	v_add_nc_u32_e32 v3, v0, v3
	v_lshrrev_b32_e32 v3, s13, v3
	s_delay_alu instid0(VALU_DEP_1) | instskip(SKIP_1) | instid1(VALU_DEP_2)
	v_mul_lo_u32 v4, v3, s14
	v_cmp_gt_u32_e64 s2, s2, v3
	v_sub_nc_u32_e32 v0, v0, v4
	s_delay_alu instid0(VALU_DEP_1) | instskip(NEXT) | instid1(VALU_DEP_3)
	v_cmp_gt_u32_e32 vcc_lo, s14, v0
	s_and_b32 s2, vcc_lo, s2
	s_delay_alu instid0(SALU_CYCLE_1) | instskip(NEXT) | instid1(SALU_CYCLE_1)
	s_and_b32 s2, s2, s3
	s_and_b32 s2, s4, s2
	s_delay_alu instid0(SALU_CYCLE_1)
	s_and_saveexec_b32 s3, s2
	s_cbranch_execz .LBB34_5
; %bb.1:
	s_clause 0x4
	s_load_b64 s[2:3], s[0:1], 0x0
	s_load_b128 s[20:23], s[0:1], 0xa8
	s_load_b256 s[4:11], s[0:1], 0x88
	s_load_b128 s[24:27], s[0:1], 0x78
	s_load_b256 s[12:19], s[0:1], 0x58
	s_waitcnt lgkmcnt(0)
	s_cmp_eq_u64 s[2:3], 0
	s_cbranch_scc1 .LBB34_3
; %bb.2:
	v_mul_lo_u32 v4, v1, s10
	v_mul_lo_u32 v6, v2, s9
	;; [unrolled: 1-line block ×3, first 2 shown]
	v_mov_b32_e32 v5, 0
	s_delay_alu instid0(VALU_DEP_2) | instskip(NEXT) | instid1(VALU_DEP_1)
	v_add3_u32 v4, v6, v4, v7
	v_lshlrev_b64 v[6:7], 1, v[4:5]
	v_mul_lo_u32 v4, v0, s7
	s_delay_alu instid0(VALU_DEP_2) | instskip(NEXT) | instid1(VALU_DEP_3)
	v_add_co_u32 v6, vcc_lo, s2, v6
	v_add_co_ci_u32_e32 v7, vcc_lo, s3, v7, vcc_lo
	s_delay_alu instid0(VALU_DEP_3) | instskip(NEXT) | instid1(VALU_DEP_1)
	v_lshlrev_b64 v[4:5], 1, v[4:5]
	v_add_co_u32 v4, vcc_lo, v6, v4
	s_delay_alu instid0(VALU_DEP_2)
	v_add_co_ci_u32_e32 v5, vcc_lo, v7, v5, vcc_lo
	global_load_u16 v4, v[4:5], off
	s_waitcnt vmcnt(0)
	v_cvt_f32_f16_e32 v4, v4
	s_branch .LBB34_4
.LBB34_3:
	v_mov_b32_e32 v4, 0
.LBB34_4:
	v_mul_hi_u32 v7, s15, v3
	v_mul_hi_u32 v5, s25, v1
	;; [unrolled: 1-line block ×4, first 2 shown]
	v_mul_lo_u32 v11, v3, s4
	s_clause 0x1
	s_load_b64 s[2:3], s[0:1], 0xb8
	s_load_b64 s[0:1], s[0:1], 0x10
	v_add_nc_u32_e32 v7, v3, v7
	v_add_nc_u32_e32 v5, v1, v5
	;; [unrolled: 1-line block ×4, first 2 shown]
	s_delay_alu instid0(VALU_DEP_4) | instskip(NEXT) | instid1(VALU_DEP_4)
	v_lshrrev_b32_e32 v7, s16, v7
	v_lshrrev_b32_e32 v5, s26, v5
	s_delay_alu instid0(VALU_DEP_4) | instskip(NEXT) | instid1(VALU_DEP_3)
	v_lshrrev_b32_e32 v6, s19, v6
	v_mul_lo_u32 v7, v7, s17
	s_delay_alu instid0(VALU_DEP_3) | instskip(NEXT) | instid1(VALU_DEP_3)
	v_mul_lo_u32 v5, v5, s27
	v_mul_lo_u32 v6, v6, s24
	s_delay_alu instid0(VALU_DEP_3)
	v_sub_nc_u32_e32 v7, v3, v7
	v_mov_b32_e32 v3, 0
	v_lshrrev_b32_e32 v8, s13, v8
	v_sub_nc_u32_e32 v5, v1, v5
	v_sub_nc_u32_e32 v6, v2, v6
	v_mul_lo_u32 v7, v7, s20
	v_mul_lo_u32 v1, v1, s6
	;; [unrolled: 1-line block ×6, first 2 shown]
	s_delay_alu instid0(VALU_DEP_4) | instskip(NEXT) | instid1(VALU_DEP_3)
	v_sub_nc_u32_e32 v8, v0, v8
	v_add3_u32 v5, v6, v5, v7
	s_delay_alu instid0(VALU_DEP_3) | instskip(SKIP_1) | instid1(VALU_DEP_4)
	v_add3_u32 v2, v2, v1, v11
	v_mov_b32_e32 v1, v3
	v_mul_lo_u32 v7, v8, s11
	s_delay_alu instid0(VALU_DEP_4) | instskip(NEXT) | instid1(VALU_DEP_4)
	v_ashrrev_i32_e32 v6, 31, v5
	v_lshlrev_b64 v[2:3], 1, v[2:3]
	s_delay_alu instid0(VALU_DEP_4) | instskip(NEXT) | instid1(VALU_DEP_3)
	v_lshlrev_b64 v[0:1], 1, v[0:1]
	v_lshlrev_b64 v[5:6], 1, v[5:6]
	v_ashrrev_i32_e32 v8, 31, v7
	s_delay_alu instid0(VALU_DEP_1) | instskip(SKIP_1) | instid1(VALU_DEP_3)
	v_lshlrev_b64 v[7:8], 1, v[7:8]
	s_waitcnt lgkmcnt(0)
	v_add_co_u32 v5, vcc_lo, s2, v5
	s_delay_alu instid0(VALU_DEP_4) | instskip(NEXT) | instid1(VALU_DEP_2)
	v_add_co_ci_u32_e32 v6, vcc_lo, s3, v6, vcc_lo
	v_add_co_u32 v5, vcc_lo, v5, v7
	s_delay_alu instid0(VALU_DEP_2) | instskip(SKIP_3) | instid1(VALU_DEP_1)
	v_add_co_ci_u32_e32 v6, vcc_lo, v6, v8, vcc_lo
	global_load_u16 v5, v[5:6], off
	s_waitcnt vmcnt(0)
	v_cvt_f32_f16_e32 v5, v5
	v_div_scale_f32 v6, null, v5, v5, v4
	v_div_scale_f32 v9, vcc_lo, v4, v5, v4
	s_delay_alu instid0(VALU_DEP_2) | instskip(SKIP_2) | instid1(VALU_DEP_1)
	v_rcp_f32_e32 v7, v6
	s_waitcnt_depctr 0xfff
	v_fma_f32 v8, -v6, v7, 1.0
	v_fmac_f32_e32 v7, v8, v7
	s_delay_alu instid0(VALU_DEP_1) | instskip(NEXT) | instid1(VALU_DEP_1)
	v_mul_f32_e32 v8, v9, v7
	v_fma_f32 v10, -v6, v8, v9
	s_delay_alu instid0(VALU_DEP_1) | instskip(NEXT) | instid1(VALU_DEP_1)
	v_fmac_f32_e32 v8, v10, v7
	v_fma_f32 v6, -v6, v8, v9
	s_delay_alu instid0(VALU_DEP_1) | instskip(SKIP_2) | instid1(VALU_DEP_3)
	v_div_fmas_f32 v6, v6, v7, v8
	v_add_co_u32 v2, vcc_lo, s0, v2
	v_add_co_ci_u32_e32 v3, vcc_lo, s1, v3, vcc_lo
	v_div_fixup_f32 v4, v6, v5, v4
	s_delay_alu instid0(VALU_DEP_3) | instskip(NEXT) | instid1(VALU_DEP_3)
	v_add_co_u32 v0, vcc_lo, v2, v0
	v_add_co_ci_u32_e32 v1, vcc_lo, v3, v1, vcc_lo
	s_delay_alu instid0(VALU_DEP_3)
	v_cvt_f16_f32_e32 v4, v4
	global_store_b16 v[0:1], v4, off
.LBB34_5:
	s_nop 0
	s_sendmsg sendmsg(MSG_DEALLOC_VGPRS)
	s_endpgm
	.section	.rodata,"a",@progbits
	.p2align	6, 0x0
	.amdhsa_kernel _ZL19k_bin_bcast_unravelIXadL_ZL6op_divffEE6__halfS0_S0_JPKS0_EEvPKT0_PKT1_PT2_15HIP_vector_typeIjLj3EESC_SC_jSC_SC_SC_SC_SC_SC_iiiiiiiiiiiDpT3_
		.amdhsa_group_segment_fixed_size 0
		.amdhsa_private_segment_fixed_size 0
		.amdhsa_kernarg_size 448
		.amdhsa_user_sgpr_count 15
		.amdhsa_user_sgpr_dispatch_ptr 0
		.amdhsa_user_sgpr_queue_ptr 0
		.amdhsa_user_sgpr_kernarg_segment_ptr 1
		.amdhsa_user_sgpr_dispatch_id 0
		.amdhsa_user_sgpr_private_segment_size 0
		.amdhsa_wavefront_size32 1
		.amdhsa_uses_dynamic_stack 0
		.amdhsa_enable_private_segment 0
		.amdhsa_system_sgpr_workgroup_id_x 1
		.amdhsa_system_sgpr_workgroup_id_y 0
		.amdhsa_system_sgpr_workgroup_id_z 0
		.amdhsa_system_sgpr_workgroup_info 0
		.amdhsa_system_vgpr_workitem_id 0
		.amdhsa_next_free_vgpr 12
		.amdhsa_next_free_sgpr 28
		.amdhsa_reserve_vcc 1
		.amdhsa_float_round_mode_32 0
		.amdhsa_float_round_mode_16_64 0
		.amdhsa_float_denorm_mode_32 3
		.amdhsa_float_denorm_mode_16_64 3
		.amdhsa_dx10_clamp 1
		.amdhsa_ieee_mode 1
		.amdhsa_fp16_overflow 0
		.amdhsa_workgroup_processor_mode 1
		.amdhsa_memory_ordered 1
		.amdhsa_forward_progress 0
		.amdhsa_shared_vgpr_count 0
		.amdhsa_exception_fp_ieee_invalid_op 0
		.amdhsa_exception_fp_denorm_src 0
		.amdhsa_exception_fp_ieee_div_zero 0
		.amdhsa_exception_fp_ieee_overflow 0
		.amdhsa_exception_fp_ieee_underflow 0
		.amdhsa_exception_fp_ieee_inexact 0
		.amdhsa_exception_int_div_zero 0
	.end_amdhsa_kernel
	.section	.text._ZL19k_bin_bcast_unravelIXadL_ZL6op_divffEE6__halfS0_S0_JPKS0_EEvPKT0_PKT1_PT2_15HIP_vector_typeIjLj3EESC_SC_jSC_SC_SC_SC_SC_SC_iiiiiiiiiiiDpT3_,"axG",@progbits,_ZL19k_bin_bcast_unravelIXadL_ZL6op_divffEE6__halfS0_S0_JPKS0_EEvPKT0_PKT1_PT2_15HIP_vector_typeIjLj3EESC_SC_jSC_SC_SC_SC_SC_SC_iiiiiiiiiiiDpT3_,comdat
.Lfunc_end34:
	.size	_ZL19k_bin_bcast_unravelIXadL_ZL6op_divffEE6__halfS0_S0_JPKS0_EEvPKT0_PKT1_PT2_15HIP_vector_typeIjLj3EESC_SC_jSC_SC_SC_SC_SC_SC_iiiiiiiiiiiDpT3_, .Lfunc_end34-_ZL19k_bin_bcast_unravelIXadL_ZL6op_divffEE6__halfS0_S0_JPKS0_EEvPKT0_PKT1_PT2_15HIP_vector_typeIjLj3EESC_SC_jSC_SC_SC_SC_SC_SC_iiiiiiiiiiiDpT3_
                                        ; -- End function
	.section	.AMDGPU.csdata,"",@progbits
; Kernel info:
; codeLenInByte = 908
; NumSgprs: 30
; NumVgprs: 12
; ScratchSize: 0
; MemoryBound: 0
; FloatMode: 240
; IeeeMode: 1
; LDSByteSize: 0 bytes/workgroup (compile time only)
; SGPRBlocks: 3
; VGPRBlocks: 1
; NumSGPRsForWavesPerEU: 30
; NumVGPRsForWavesPerEU: 12
; Occupancy: 16
; WaveLimiterHint : 1
; COMPUTE_PGM_RSRC2:SCRATCH_EN: 0
; COMPUTE_PGM_RSRC2:USER_SGPR: 15
; COMPUTE_PGM_RSRC2:TRAP_HANDLER: 0
; COMPUTE_PGM_RSRC2:TGID_X_EN: 1
; COMPUTE_PGM_RSRC2:TGID_Y_EN: 0
; COMPUTE_PGM_RSRC2:TGID_Z_EN: 0
; COMPUTE_PGM_RSRC2:TIDIG_COMP_CNT: 0
	.section	.text._ZL11k_bin_bcastIXadL_ZL6op_divffEE6__halfS0_S0_JPKS0_EEvPKT0_PKT1_PT2_iii15HIP_vector_typeIjLj3EESC_SC_SC_SC_iiiiiiiiiiiDpT3_,"axG",@progbits,_ZL11k_bin_bcastIXadL_ZL6op_divffEE6__halfS0_S0_JPKS0_EEvPKT0_PKT1_PT2_iii15HIP_vector_typeIjLj3EESC_SC_SC_SC_iiiiiiiiiiiDpT3_,comdat
	.globl	_ZL11k_bin_bcastIXadL_ZL6op_divffEE6__halfS0_S0_JPKS0_EEvPKT0_PKT1_PT2_iii15HIP_vector_typeIjLj3EESC_SC_SC_SC_iiiiiiiiiiiDpT3_ ; -- Begin function _ZL11k_bin_bcastIXadL_ZL6op_divffEE6__halfS0_S0_JPKS0_EEvPKT0_PKT1_PT2_iii15HIP_vector_typeIjLj3EESC_SC_SC_SC_iiiiiiiiiiiDpT3_
	.p2align	8
	.type	_ZL11k_bin_bcastIXadL_ZL6op_divffEE6__halfS0_S0_JPKS0_EEvPKT0_PKT1_PT2_iii15HIP_vector_typeIjLj3EESC_SC_SC_SC_iiiiiiiiiiiDpT3_,@function
_ZL11k_bin_bcastIXadL_ZL6op_divffEE6__halfS0_S0_JPKS0_EEvPKT0_PKT1_PT2_iii15HIP_vector_typeIjLj3EESC_SC_SC_SC_iiiiiiiiiiiDpT3_: ; @_ZL11k_bin_bcastIXadL_ZL6op_divffEE6__halfS0_S0_JPKS0_EEvPKT0_PKT1_PT2_iii15HIP_vector_typeIjLj3EESC_SC_SC_SC_iiiiiiiiiiiDpT3_
; %bb.0:
	s_clause 0x1
	s_load_b64 s[2:3], s[0:1], 0xa4
	s_load_b256 s[16:23], s[0:1], 0x18
	v_bfe_u32 v1, v0, 20, 10
	s_add_u32 s24, s0, 0x98
	s_addc_u32 s25, s1, 0
	v_bfe_u32 v6, v0, 10, 10
	s_waitcnt lgkmcnt(0)
	s_and_b32 s3, s3, 0xffff
	s_and_b32 s12, s2, 0xffff
	v_mad_u64_u32 v[2:3], null, s15, s3, v[1:2]
	v_and_b32_e32 v3, 0x3ff, v0
	s_lshr_b32 s3, s2, 16
	s_delay_alu instid0(VALU_DEP_2) | instskip(NEXT) | instid1(VALU_DEP_1)
	v_mul_hi_u32 v1, v2, s19
	v_add_nc_u32_e32 v1, v2, v1
	s_delay_alu instid0(VALU_DEP_1) | instskip(SKIP_2) | instid1(VALU_DEP_3)
	v_lshrrev_b32_e32 v5, s20, v1
	v_mad_u64_u32 v[0:1], null, s13, s12, v[3:4]
	v_mad_u64_u32 v[3:4], null, s14, s3, v[6:7]
	v_mul_lo_u32 v1, v5, s21
	v_cmp_gt_u32_e64 s3, s18, v5
	s_delay_alu instid0(VALU_DEP_4) | instskip(NEXT) | instid1(VALU_DEP_4)
	v_cmp_gt_u32_e32 vcc_lo, s16, v0
	v_cmp_gt_u32_e64 s2, s17, v3
	s_delay_alu instid0(VALU_DEP_4) | instskip(NEXT) | instid1(VALU_DEP_2)
	v_sub_nc_u32_e32 v4, v2, v1
	s_and_b32 s2, vcc_lo, s2
	s_delay_alu instid0(SALU_CYCLE_1) | instskip(NEXT) | instid1(VALU_DEP_1)
	s_and_b32 s2, s2, s3
	v_cmp_gt_u32_e64 s4, s21, v4
	s_delay_alu instid0(VALU_DEP_1) | instskip(NEXT) | instid1(SALU_CYCLE_1)
	s_and_b32 s2, s2, s4
	s_and_saveexec_b32 s3, s2
	s_cbranch_execz .LBB35_6
; %bb.1:
	v_cmp_gt_i32_e32 vcc_lo, s16, v0
	s_and_b32 exec_lo, exec_lo, vcc_lo
	s_cbranch_execz .LBB35_6
; %bb.2:
	s_clause 0x2
	s_load_b256 s[36:43], s[0:1], 0x3c
	s_load_b256 s[4:11], s[0:1], 0x60
	s_load_b32 s13, s[0:1], 0x5c
	s_load_b32 s17, s[24:25], 0x0
	s_clause 0x3
	s_load_b128 s[24:27], s[0:1], 0x80
	s_load_b64 s[2:3], s[0:1], 0x0
	s_load_b32 s18, s[0:1], 0x38
	s_load_b64 s[14:15], s[0:1], 0x10
	s_waitcnt lgkmcnt(0)
	v_mul_hi_u32 v1, s39, v5
	v_mov_b32_e32 v2, 0
	v_mul_hi_u32 v6, s42, v4
	v_mul_hi_u32 v7, s36, v3
	v_mul_lo_u32 v8, v4, s10
	v_mul_lo_u32 v9, v5, s9
	;; [unrolled: 1-line block ×4, first 2 shown]
	v_add_nc_u32_e32 v1, v5, v1
	v_mul_lo_u32 v12, v4, s6
	v_add_nc_u32_e32 v6, v4, v6
	v_add_nc_u32_e32 v7, v3, v7
	v_mul_lo_u32 v14, v3, s4
	v_lshrrev_b32_e32 v1, s40, v1
	s_load_b64 s[8:9], s[0:1], 0x90
	s_cmp_lg_u64 s[2:3], 0
	v_lshrrev_b32_e32 v7, s37, v7
	s_delay_alu instid0(VALU_DEP_2) | instskip(SKIP_1) | instid1(VALU_DEP_3)
	v_mul_lo_u32 v11, v1, s41
	v_add3_u32 v1, v9, v10, v8
	v_mul_lo_u32 v7, v7, s38
	s_delay_alu instid0(VALU_DEP_3) | instskip(SKIP_2) | instid1(VALU_DEP_4)
	v_sub_nc_u32_e32 v8, v5, v11
	v_mov_b32_e32 v5, v2
	v_lshrrev_b32_e32 v6, s43, v6
	v_sub_nc_u32_e32 v3, v3, v7
	s_delay_alu instid0(VALU_DEP_2) | instskip(NEXT) | instid1(VALU_DEP_2)
	v_mul_lo_u32 v6, v6, s13
	v_mul_lo_u32 v9, v3, s24
	;; [unrolled: 1-line block ×3, first 2 shown]
	s_delay_alu instid0(VALU_DEP_3) | instskip(SKIP_2) | instid1(VALU_DEP_3)
	v_sub_nc_u32_e32 v4, v4, v6
	v_lshlrev_b64 v[6:7], 1, v[1:2]
	v_mul_lo_u32 v1, v8, s25
	v_mul_lo_u32 v8, v4, s26
	v_add3_u32 v4, v13, v14, v12
	s_delay_alu instid0(VALU_DEP_4) | instskip(SKIP_3) | instid1(VALU_DEP_4)
	v_add_co_u32 v10, vcc_lo, s2, v6
	v_add_co_ci_u32_e32 v6, vcc_lo, s3, v7, vcc_lo
	s_cselect_b32 vcc_lo, -1, 0
	s_mul_i32 s2, s17, s12
	v_add3_u32 v1, v1, v8, v9
	s_delay_alu instid0(VALU_DEP_2)
	v_cndmask_b32_e32 v6, 0, v6, vcc_lo
	v_lshlrev_b64 v[7:8], 1, v[4:5]
	v_cndmask_b32_e32 v5, 0, v10, vcc_lo
	s_mov_b32 s3, 0
	v_lshlrev_b64 v[9:10], 1, v[1:2]
	s_mul_i32 s4, s2, s7
	s_sub_i32 s5, 0, s18
	v_add_co_u32 v7, vcc_lo, s14, v7
	v_add_co_ci_u32_e32 v8, vcc_lo, s15, v8, vcc_lo
	s_waitcnt lgkmcnt(0)
	v_add_co_u32 v9, vcc_lo, s8, v9
	v_cmp_ne_u64_e64 s0, 0, v[5:6]
	v_add_co_ci_u32_e32 v10, vcc_lo, s9, v10, vcc_lo
	s_branch .LBB35_4
.LBB35_3:                               ;   in Loop: Header=BB35_4 Depth=1
	s_or_b32 exec_lo, exec_lo, s1
	v_mul_hi_u32 v1, s22, v0
	v_add_nc_u32_e32 v3, s4, v3
	s_delay_alu instid0(VALU_DEP_2) | instskip(NEXT) | instid1(VALU_DEP_1)
	v_add_nc_u32_e32 v1, v0, v1
	v_lshrrev_b32_e32 v1, s23, v1
	s_delay_alu instid0(VALU_DEP_1) | instskip(NEXT) | instid1(VALU_DEP_1)
	v_mad_u64_u32 v[11:12], null, s5, v1, v[0:1]
	v_mul_lo_u32 v1, v11, s11
	s_delay_alu instid0(VALU_DEP_1) | instskip(NEXT) | instid1(VALU_DEP_1)
	v_lshlrev_b64 v[11:12], 1, v[1:2]
	v_add_co_u32 v11, vcc_lo, v9, v11
	s_delay_alu instid0(VALU_DEP_2) | instskip(SKIP_3) | instid1(VALU_DEP_1)
	v_add_co_ci_u32_e32 v12, vcc_lo, v10, v12, vcc_lo
	global_load_u16 v1, v[11:12], off
	s_waitcnt vmcnt(0)
	v_cvt_f32_f16_e32 v13, v1
	v_div_scale_f32 v1, null, v13, v13, v4
	v_div_scale_f32 v14, vcc_lo, v4, v13, v4
	s_delay_alu instid0(VALU_DEP_2) | instskip(SKIP_2) | instid1(VALU_DEP_1)
	v_rcp_f32_e32 v11, v1
	s_waitcnt_depctr 0xfff
	v_fma_f32 v12, -v1, v11, 1.0
	v_fmac_f32_e32 v11, v12, v11
	s_delay_alu instid0(VALU_DEP_1) | instskip(NEXT) | instid1(VALU_DEP_1)
	v_mul_f32_e32 v12, v14, v11
	v_fma_f32 v15, -v1, v12, v14
	s_delay_alu instid0(VALU_DEP_1) | instskip(NEXT) | instid1(VALU_DEP_1)
	v_fmac_f32_e32 v12, v15, v11
	v_fma_f32 v14, -v1, v12, v14
	v_ashrrev_i32_e32 v1, 31, v0
	s_delay_alu instid0(VALU_DEP_2) | instskip(NEXT) | instid1(VALU_DEP_2)
	v_div_fmas_f32 v14, v14, v11, v12
	v_lshlrev_b64 v[11:12], 1, v[0:1]
	v_add_nc_u32_e32 v0, s2, v0
	s_delay_alu instid0(VALU_DEP_3) | instskip(NEXT) | instid1(VALU_DEP_2)
	v_div_fixup_f32 v1, v14, v13, v4
	v_cmp_le_i32_e32 vcc_lo, s16, v0
	s_delay_alu instid0(VALU_DEP_4) | instskip(NEXT) | instid1(VALU_DEP_3)
	v_add_co_u32 v11, s1, v7, v11
	v_cvt_f16_f32_e32 v1, v1
	v_add_co_ci_u32_e64 v12, s1, v8, v12, s1
	s_or_b32 s3, vcc_lo, s3
	global_store_b16 v[11:12], v1, off
	s_and_not1_b32 exec_lo, exec_lo, s3
	s_cbranch_execz .LBB35_6
.LBB35_4:                               ; =>This Inner Loop Header: Depth=1
	v_mov_b32_e32 v4, 0
	s_delay_alu instid0(VALU_DEP_3)
	s_and_saveexec_b32 s1, s0
	s_cbranch_execz .LBB35_3
; %bb.5:                                ;   in Loop: Header=BB35_4 Depth=1
	v_ashrrev_i32_e32 v4, 31, v3
	s_delay_alu instid0(VALU_DEP_1) | instskip(NEXT) | instid1(VALU_DEP_1)
	v_lshlrev_b64 v[11:12], 1, v[3:4]
	v_add_co_u32 v11, vcc_lo, v5, v11
	s_delay_alu instid0(VALU_DEP_2)
	v_add_co_ci_u32_e32 v12, vcc_lo, v6, v12, vcc_lo
	global_load_u16 v1, v[11:12], off
	s_waitcnt vmcnt(0)
	v_cvt_f32_f16_e32 v4, v1
	s_branch .LBB35_3
.LBB35_6:
	s_nop 0
	s_sendmsg sendmsg(MSG_DEALLOC_VGPRS)
	s_endpgm
	.section	.rodata,"a",@progbits
	.p2align	6, 0x0
	.amdhsa_kernel _ZL11k_bin_bcastIXadL_ZL6op_divffEE6__halfS0_S0_JPKS0_EEvPKT0_PKT1_PT2_iii15HIP_vector_typeIjLj3EESC_SC_SC_SC_iiiiiiiiiiiDpT3_
		.amdhsa_group_segment_fixed_size 0
		.amdhsa_private_segment_fixed_size 0
		.amdhsa_kernarg_size 408
		.amdhsa_user_sgpr_count 13
		.amdhsa_user_sgpr_dispatch_ptr 0
		.amdhsa_user_sgpr_queue_ptr 0
		.amdhsa_user_sgpr_kernarg_segment_ptr 1
		.amdhsa_user_sgpr_dispatch_id 0
		.amdhsa_user_sgpr_private_segment_size 0
		.amdhsa_wavefront_size32 1
		.amdhsa_uses_dynamic_stack 0
		.amdhsa_enable_private_segment 0
		.amdhsa_system_sgpr_workgroup_id_x 1
		.amdhsa_system_sgpr_workgroup_id_y 1
		.amdhsa_system_sgpr_workgroup_id_z 1
		.amdhsa_system_sgpr_workgroup_info 0
		.amdhsa_system_vgpr_workitem_id 2
		.amdhsa_next_free_vgpr 16
		.amdhsa_next_free_sgpr 44
		.amdhsa_reserve_vcc 1
		.amdhsa_float_round_mode_32 0
		.amdhsa_float_round_mode_16_64 0
		.amdhsa_float_denorm_mode_32 3
		.amdhsa_float_denorm_mode_16_64 3
		.amdhsa_dx10_clamp 1
		.amdhsa_ieee_mode 1
		.amdhsa_fp16_overflow 0
		.amdhsa_workgroup_processor_mode 1
		.amdhsa_memory_ordered 1
		.amdhsa_forward_progress 0
		.amdhsa_shared_vgpr_count 0
		.amdhsa_exception_fp_ieee_invalid_op 0
		.amdhsa_exception_fp_denorm_src 0
		.amdhsa_exception_fp_ieee_div_zero 0
		.amdhsa_exception_fp_ieee_overflow 0
		.amdhsa_exception_fp_ieee_underflow 0
		.amdhsa_exception_fp_ieee_inexact 0
		.amdhsa_exception_int_div_zero 0
	.end_amdhsa_kernel
	.section	.text._ZL11k_bin_bcastIXadL_ZL6op_divffEE6__halfS0_S0_JPKS0_EEvPKT0_PKT1_PT2_iii15HIP_vector_typeIjLj3EESC_SC_SC_SC_iiiiiiiiiiiDpT3_,"axG",@progbits,_ZL11k_bin_bcastIXadL_ZL6op_divffEE6__halfS0_S0_JPKS0_EEvPKT0_PKT1_PT2_iii15HIP_vector_typeIjLj3EESC_SC_SC_SC_iiiiiiiiiiiDpT3_,comdat
.Lfunc_end35:
	.size	_ZL11k_bin_bcastIXadL_ZL6op_divffEE6__halfS0_S0_JPKS0_EEvPKT0_PKT1_PT2_iii15HIP_vector_typeIjLj3EESC_SC_SC_SC_iiiiiiiiiiiDpT3_, .Lfunc_end35-_ZL11k_bin_bcastIXadL_ZL6op_divffEE6__halfS0_S0_JPKS0_EEvPKT0_PKT1_PT2_iii15HIP_vector_typeIjLj3EESC_SC_SC_SC_iiiiiiiiiiiDpT3_
                                        ; -- End function
	.section	.AMDGPU.csdata,"",@progbits
; Kernel info:
; codeLenInByte = 960
; NumSgprs: 46
; NumVgprs: 16
; ScratchSize: 0
; MemoryBound: 0
; FloatMode: 240
; IeeeMode: 1
; LDSByteSize: 0 bytes/workgroup (compile time only)
; SGPRBlocks: 5
; VGPRBlocks: 1
; NumSGPRsForWavesPerEU: 46
; NumVGPRsForWavesPerEU: 16
; Occupancy: 16
; WaveLimiterHint : 1
; COMPUTE_PGM_RSRC2:SCRATCH_EN: 0
; COMPUTE_PGM_RSRC2:USER_SGPR: 13
; COMPUTE_PGM_RSRC2:TRAP_HANDLER: 0
; COMPUTE_PGM_RSRC2:TGID_X_EN: 1
; COMPUTE_PGM_RSRC2:TGID_Y_EN: 1
; COMPUTE_PGM_RSRC2:TGID_Z_EN: 1
; COMPUTE_PGM_RSRC2:TIDIG_COMP_CNT: 2
	.section	.text._ZL19k_bin_bcast_unravelIXadL_ZL6op_divffEE6__halffS0_JPKfEEvPKT0_PKT1_PT2_15HIP_vector_typeIjLj3EESC_SC_jSC_SC_SC_SC_SC_SC_iiiiiiiiiiiDpT3_,"axG",@progbits,_ZL19k_bin_bcast_unravelIXadL_ZL6op_divffEE6__halffS0_JPKfEEvPKT0_PKT1_PT2_15HIP_vector_typeIjLj3EESC_SC_jSC_SC_SC_SC_SC_SC_iiiiiiiiiiiDpT3_,comdat
	.globl	_ZL19k_bin_bcast_unravelIXadL_ZL6op_divffEE6__halffS0_JPKfEEvPKT0_PKT1_PT2_15HIP_vector_typeIjLj3EESC_SC_jSC_SC_SC_SC_SC_SC_iiiiiiiiiiiDpT3_ ; -- Begin function _ZL19k_bin_bcast_unravelIXadL_ZL6op_divffEE6__halffS0_JPKfEEvPKT0_PKT1_PT2_15HIP_vector_typeIjLj3EESC_SC_jSC_SC_SC_SC_SC_SC_iiiiiiiiiiiDpT3_
	.p2align	8
	.type	_ZL19k_bin_bcast_unravelIXadL_ZL6op_divffEE6__halffS0_JPKfEEvPKT0_PKT1_PT2_15HIP_vector_typeIjLj3EESC_SC_jSC_SC_SC_SC_SC_SC_iiiiiiiiiiiDpT3_,@function
_ZL19k_bin_bcast_unravelIXadL_ZL6op_divffEE6__halffS0_JPKfEEvPKT0_PKT1_PT2_15HIP_vector_typeIjLj3EESC_SC_jSC_SC_SC_SC_SC_SC_iiiiiiiiiiiDpT3_: ; @_ZL19k_bin_bcast_unravelIXadL_ZL6op_divffEE6__halffS0_JPKfEEvPKT0_PKT1_PT2_15HIP_vector_typeIjLj3EESC_SC_jSC_SC_SC_SC_SC_SC_iiiiiiiiiiiDpT3_
; %bb.0:
	s_clause 0x1
	s_load_b32 s2, s[0:1], 0xcc
	s_load_b256 s[4:11], s[0:1], 0x38
	s_waitcnt lgkmcnt(0)
	s_and_b32 s2, s2, 0xffff
	s_delay_alu instid0(SALU_CYCLE_1) | instskip(SKIP_3) | instid1(VALU_DEP_1)
	v_mad_u64_u32 v[2:3], null, s15, s2, v[0:1]
	s_clause 0x1
	s_load_b128 s[12:15], s[0:1], 0x18
	s_load_b32 s2, s[0:1], 0x2c
	v_mul_hi_u32 v0, v2, s6
	s_delay_alu instid0(VALU_DEP_1) | instskip(NEXT) | instid1(VALU_DEP_1)
	v_add_nc_u32_e32 v0, v2, v0
	v_lshrrev_b32_e32 v1, s7, v0
	s_delay_alu instid0(VALU_DEP_1) | instskip(NEXT) | instid1(VALU_DEP_1)
	v_mul_lo_u32 v0, v1, s8
	v_sub_nc_u32_e32 v0, v2, v0
	s_delay_alu instid0(VALU_DEP_1) | instskip(NEXT) | instid1(VALU_DEP_1)
	v_mul_hi_u32 v2, v0, s9
	v_add_nc_u32_e32 v2, v0, v2
	s_delay_alu instid0(VALU_DEP_1) | instskip(NEXT) | instid1(VALU_DEP_1)
	v_lshrrev_b32_e32 v2, s10, v2
	v_mul_lo_u32 v3, v2, s11
	v_cmp_gt_u32_e64 s3, s4, v2
	v_cmp_gt_u32_e64 s4, s5, v1
	s_delay_alu instid0(VALU_DEP_3) | instskip(SKIP_1) | instid1(VALU_DEP_1)
	v_sub_nc_u32_e32 v0, v0, v3
	s_waitcnt lgkmcnt(0)
	v_mul_hi_u32 v3, v0, s12
	s_delay_alu instid0(VALU_DEP_1) | instskip(NEXT) | instid1(VALU_DEP_1)
	v_add_nc_u32_e32 v3, v0, v3
	v_lshrrev_b32_e32 v3, s13, v3
	s_delay_alu instid0(VALU_DEP_1) | instskip(SKIP_1) | instid1(VALU_DEP_2)
	v_mul_lo_u32 v4, v3, s14
	v_cmp_gt_u32_e64 s2, s2, v3
	v_sub_nc_u32_e32 v0, v0, v4
	s_delay_alu instid0(VALU_DEP_1) | instskip(NEXT) | instid1(VALU_DEP_3)
	v_cmp_gt_u32_e32 vcc_lo, s14, v0
	s_and_b32 s2, vcc_lo, s2
	s_delay_alu instid0(SALU_CYCLE_1) | instskip(NEXT) | instid1(SALU_CYCLE_1)
	s_and_b32 s2, s2, s3
	s_and_b32 s2, s4, s2
	s_delay_alu instid0(SALU_CYCLE_1)
	s_and_saveexec_b32 s3, s2
	s_cbranch_execz .LBB36_5
; %bb.1:
	s_clause 0x4
	s_load_b64 s[2:3], s[0:1], 0x0
	s_load_b128 s[20:23], s[0:1], 0xa8
	s_load_b256 s[4:11], s[0:1], 0x88
	s_load_b128 s[24:27], s[0:1], 0x78
	s_load_b256 s[12:19], s[0:1], 0x58
	s_waitcnt lgkmcnt(0)
	s_cmp_eq_u64 s[2:3], 0
	s_cbranch_scc1 .LBB36_3
; %bb.2:
	v_mul_lo_u32 v4, v1, s10
	v_mul_lo_u32 v6, v2, s9
	;; [unrolled: 1-line block ×3, first 2 shown]
	v_mov_b32_e32 v5, 0
	s_delay_alu instid0(VALU_DEP_2) | instskip(NEXT) | instid1(VALU_DEP_1)
	v_add3_u32 v4, v6, v4, v7
	v_lshlrev_b64 v[6:7], 1, v[4:5]
	v_mul_lo_u32 v4, v0, s7
	s_delay_alu instid0(VALU_DEP_2) | instskip(NEXT) | instid1(VALU_DEP_3)
	v_add_co_u32 v6, vcc_lo, s2, v6
	v_add_co_ci_u32_e32 v7, vcc_lo, s3, v7, vcc_lo
	s_delay_alu instid0(VALU_DEP_3) | instskip(NEXT) | instid1(VALU_DEP_1)
	v_lshlrev_b64 v[4:5], 1, v[4:5]
	v_add_co_u32 v4, vcc_lo, v6, v4
	s_delay_alu instid0(VALU_DEP_2)
	v_add_co_ci_u32_e32 v5, vcc_lo, v7, v5, vcc_lo
	global_load_u16 v4, v[4:5], off
	s_waitcnt vmcnt(0)
	v_cvt_f32_f16_e32 v4, v4
	s_branch .LBB36_4
.LBB36_3:
	v_mov_b32_e32 v4, 0
.LBB36_4:
	v_mul_hi_u32 v7, s15, v3
	v_mul_hi_u32 v5, s25, v1
	;; [unrolled: 1-line block ×4, first 2 shown]
	v_mul_lo_u32 v11, v3, s4
	s_clause 0x1
	s_load_b64 s[2:3], s[0:1], 0xb8
	s_load_b64 s[0:1], s[0:1], 0x10
	v_add_nc_u32_e32 v7, v3, v7
	v_add_nc_u32_e32 v5, v1, v5
	;; [unrolled: 1-line block ×4, first 2 shown]
	s_delay_alu instid0(VALU_DEP_4) | instskip(NEXT) | instid1(VALU_DEP_4)
	v_lshrrev_b32_e32 v7, s16, v7
	v_lshrrev_b32_e32 v5, s26, v5
	s_delay_alu instid0(VALU_DEP_4) | instskip(NEXT) | instid1(VALU_DEP_3)
	v_lshrrev_b32_e32 v6, s19, v6
	v_mul_lo_u32 v7, v7, s17
	s_delay_alu instid0(VALU_DEP_3) | instskip(NEXT) | instid1(VALU_DEP_3)
	v_mul_lo_u32 v5, v5, s27
	v_mul_lo_u32 v6, v6, s24
	s_delay_alu instid0(VALU_DEP_3)
	v_sub_nc_u32_e32 v7, v3, v7
	v_mov_b32_e32 v3, 0
	v_lshrrev_b32_e32 v8, s13, v8
	v_sub_nc_u32_e32 v5, v1, v5
	v_sub_nc_u32_e32 v6, v2, v6
	v_mul_lo_u32 v7, v7, s20
	v_mul_lo_u32 v1, v1, s6
	;; [unrolled: 1-line block ×6, first 2 shown]
	s_delay_alu instid0(VALU_DEP_4) | instskip(NEXT) | instid1(VALU_DEP_3)
	v_sub_nc_u32_e32 v8, v0, v8
	v_add3_u32 v5, v6, v5, v7
	s_delay_alu instid0(VALU_DEP_3) | instskip(SKIP_1) | instid1(VALU_DEP_4)
	v_add3_u32 v2, v2, v1, v11
	v_mov_b32_e32 v1, v3
	v_mul_lo_u32 v7, v8, s11
	s_delay_alu instid0(VALU_DEP_4) | instskip(NEXT) | instid1(VALU_DEP_4)
	v_ashrrev_i32_e32 v6, 31, v5
	v_lshlrev_b64 v[2:3], 1, v[2:3]
	s_delay_alu instid0(VALU_DEP_4) | instskip(NEXT) | instid1(VALU_DEP_3)
	v_lshlrev_b64 v[0:1], 1, v[0:1]
	v_lshlrev_b64 v[5:6], 2, v[5:6]
	v_ashrrev_i32_e32 v8, 31, v7
	s_delay_alu instid0(VALU_DEP_1) | instskip(SKIP_1) | instid1(VALU_DEP_3)
	v_lshlrev_b64 v[7:8], 2, v[7:8]
	s_waitcnt lgkmcnt(0)
	v_add_co_u32 v5, vcc_lo, s2, v5
	s_delay_alu instid0(VALU_DEP_4) | instskip(NEXT) | instid1(VALU_DEP_2)
	v_add_co_ci_u32_e32 v6, vcc_lo, s3, v6, vcc_lo
	v_add_co_u32 v5, vcc_lo, v5, v7
	s_delay_alu instid0(VALU_DEP_2) | instskip(SKIP_4) | instid1(VALU_DEP_2)
	v_add_co_ci_u32_e32 v6, vcc_lo, v6, v8, vcc_lo
	global_load_b32 v5, v[5:6], off
	s_waitcnt vmcnt(0)
	v_div_scale_f32 v6, null, v5, v5, v4
	v_div_scale_f32 v9, vcc_lo, v4, v5, v4
	v_rcp_f32_e32 v7, v6
	s_waitcnt_depctr 0xfff
	v_fma_f32 v8, -v6, v7, 1.0
	s_delay_alu instid0(VALU_DEP_1) | instskip(NEXT) | instid1(VALU_DEP_1)
	v_fmac_f32_e32 v7, v8, v7
	v_mul_f32_e32 v8, v9, v7
	s_delay_alu instid0(VALU_DEP_1) | instskip(NEXT) | instid1(VALU_DEP_1)
	v_fma_f32 v10, -v6, v8, v9
	v_fmac_f32_e32 v8, v10, v7
	s_delay_alu instid0(VALU_DEP_1) | instskip(NEXT) | instid1(VALU_DEP_1)
	v_fma_f32 v6, -v6, v8, v9
	v_div_fmas_f32 v6, v6, v7, v8
	v_add_co_u32 v2, vcc_lo, s0, v2
	v_add_co_ci_u32_e32 v3, vcc_lo, s1, v3, vcc_lo
	s_delay_alu instid0(VALU_DEP_3) | instskip(NEXT) | instid1(VALU_DEP_3)
	v_div_fixup_f32 v4, v6, v5, v4
	v_add_co_u32 v0, vcc_lo, v2, v0
	s_delay_alu instid0(VALU_DEP_3) | instskip(NEXT) | instid1(VALU_DEP_3)
	v_add_co_ci_u32_e32 v1, vcc_lo, v3, v1, vcc_lo
	v_cvt_f16_f32_e32 v4, v4
	global_store_b16 v[0:1], v4, off
.LBB36_5:
	s_nop 0
	s_sendmsg sendmsg(MSG_DEALLOC_VGPRS)
	s_endpgm
	.section	.rodata,"a",@progbits
	.p2align	6, 0x0
	.amdhsa_kernel _ZL19k_bin_bcast_unravelIXadL_ZL6op_divffEE6__halffS0_JPKfEEvPKT0_PKT1_PT2_15HIP_vector_typeIjLj3EESC_SC_jSC_SC_SC_SC_SC_SC_iiiiiiiiiiiDpT3_
		.amdhsa_group_segment_fixed_size 0
		.amdhsa_private_segment_fixed_size 0
		.amdhsa_kernarg_size 448
		.amdhsa_user_sgpr_count 15
		.amdhsa_user_sgpr_dispatch_ptr 0
		.amdhsa_user_sgpr_queue_ptr 0
		.amdhsa_user_sgpr_kernarg_segment_ptr 1
		.amdhsa_user_sgpr_dispatch_id 0
		.amdhsa_user_sgpr_private_segment_size 0
		.amdhsa_wavefront_size32 1
		.amdhsa_uses_dynamic_stack 0
		.amdhsa_enable_private_segment 0
		.amdhsa_system_sgpr_workgroup_id_x 1
		.amdhsa_system_sgpr_workgroup_id_y 0
		.amdhsa_system_sgpr_workgroup_id_z 0
		.amdhsa_system_sgpr_workgroup_info 0
		.amdhsa_system_vgpr_workitem_id 0
		.amdhsa_next_free_vgpr 12
		.amdhsa_next_free_sgpr 28
		.amdhsa_reserve_vcc 1
		.amdhsa_float_round_mode_32 0
		.amdhsa_float_round_mode_16_64 0
		.amdhsa_float_denorm_mode_32 3
		.amdhsa_float_denorm_mode_16_64 3
		.amdhsa_dx10_clamp 1
		.amdhsa_ieee_mode 1
		.amdhsa_fp16_overflow 0
		.amdhsa_workgroup_processor_mode 1
		.amdhsa_memory_ordered 1
		.amdhsa_forward_progress 0
		.amdhsa_shared_vgpr_count 0
		.amdhsa_exception_fp_ieee_invalid_op 0
		.amdhsa_exception_fp_denorm_src 0
		.amdhsa_exception_fp_ieee_div_zero 0
		.amdhsa_exception_fp_ieee_overflow 0
		.amdhsa_exception_fp_ieee_underflow 0
		.amdhsa_exception_fp_ieee_inexact 0
		.amdhsa_exception_int_div_zero 0
	.end_amdhsa_kernel
	.section	.text._ZL19k_bin_bcast_unravelIXadL_ZL6op_divffEE6__halffS0_JPKfEEvPKT0_PKT1_PT2_15HIP_vector_typeIjLj3EESC_SC_jSC_SC_SC_SC_SC_SC_iiiiiiiiiiiDpT3_,"axG",@progbits,_ZL19k_bin_bcast_unravelIXadL_ZL6op_divffEE6__halffS0_JPKfEEvPKT0_PKT1_PT2_15HIP_vector_typeIjLj3EESC_SC_jSC_SC_SC_SC_SC_SC_iiiiiiiiiiiDpT3_,comdat
.Lfunc_end36:
	.size	_ZL19k_bin_bcast_unravelIXadL_ZL6op_divffEE6__halffS0_JPKfEEvPKT0_PKT1_PT2_15HIP_vector_typeIjLj3EESC_SC_jSC_SC_SC_SC_SC_SC_iiiiiiiiiiiDpT3_, .Lfunc_end36-_ZL19k_bin_bcast_unravelIXadL_ZL6op_divffEE6__halffS0_JPKfEEvPKT0_PKT1_PT2_15HIP_vector_typeIjLj3EESC_SC_jSC_SC_SC_SC_SC_SC_iiiiiiiiiiiDpT3_
                                        ; -- End function
	.section	.AMDGPU.csdata,"",@progbits
; Kernel info:
; codeLenInByte = 900
; NumSgprs: 30
; NumVgprs: 12
; ScratchSize: 0
; MemoryBound: 0
; FloatMode: 240
; IeeeMode: 1
; LDSByteSize: 0 bytes/workgroup (compile time only)
; SGPRBlocks: 3
; VGPRBlocks: 1
; NumSGPRsForWavesPerEU: 30
; NumVGPRsForWavesPerEU: 12
; Occupancy: 16
; WaveLimiterHint : 1
; COMPUTE_PGM_RSRC2:SCRATCH_EN: 0
; COMPUTE_PGM_RSRC2:USER_SGPR: 15
; COMPUTE_PGM_RSRC2:TRAP_HANDLER: 0
; COMPUTE_PGM_RSRC2:TGID_X_EN: 1
; COMPUTE_PGM_RSRC2:TGID_Y_EN: 0
; COMPUTE_PGM_RSRC2:TGID_Z_EN: 0
; COMPUTE_PGM_RSRC2:TIDIG_COMP_CNT: 0
	.section	.text._ZL11k_bin_bcastIXadL_ZL6op_divffEE6__halffS0_JPKfEEvPKT0_PKT1_PT2_iii15HIP_vector_typeIjLj3EESC_SC_SC_SC_iiiiiiiiiiiDpT3_,"axG",@progbits,_ZL11k_bin_bcastIXadL_ZL6op_divffEE6__halffS0_JPKfEEvPKT0_PKT1_PT2_iii15HIP_vector_typeIjLj3EESC_SC_SC_SC_iiiiiiiiiiiDpT3_,comdat
	.globl	_ZL11k_bin_bcastIXadL_ZL6op_divffEE6__halffS0_JPKfEEvPKT0_PKT1_PT2_iii15HIP_vector_typeIjLj3EESC_SC_SC_SC_iiiiiiiiiiiDpT3_ ; -- Begin function _ZL11k_bin_bcastIXadL_ZL6op_divffEE6__halffS0_JPKfEEvPKT0_PKT1_PT2_iii15HIP_vector_typeIjLj3EESC_SC_SC_SC_iiiiiiiiiiiDpT3_
	.p2align	8
	.type	_ZL11k_bin_bcastIXadL_ZL6op_divffEE6__halffS0_JPKfEEvPKT0_PKT1_PT2_iii15HIP_vector_typeIjLj3EESC_SC_SC_SC_iiiiiiiiiiiDpT3_,@function
_ZL11k_bin_bcastIXadL_ZL6op_divffEE6__halffS0_JPKfEEvPKT0_PKT1_PT2_iii15HIP_vector_typeIjLj3EESC_SC_SC_SC_iiiiiiiiiiiDpT3_: ; @_ZL11k_bin_bcastIXadL_ZL6op_divffEE6__halffS0_JPKfEEvPKT0_PKT1_PT2_iii15HIP_vector_typeIjLj3EESC_SC_SC_SC_iiiiiiiiiiiDpT3_
; %bb.0:
	s_clause 0x1
	s_load_b64 s[2:3], s[0:1], 0xa4
	s_load_b256 s[16:23], s[0:1], 0x18
	v_bfe_u32 v1, v0, 20, 10
	s_add_u32 s24, s0, 0x98
	s_addc_u32 s25, s1, 0
	v_bfe_u32 v6, v0, 10, 10
	s_waitcnt lgkmcnt(0)
	s_and_b32 s3, s3, 0xffff
	s_and_b32 s12, s2, 0xffff
	v_mad_u64_u32 v[2:3], null, s15, s3, v[1:2]
	v_and_b32_e32 v3, 0x3ff, v0
	s_lshr_b32 s3, s2, 16
	s_delay_alu instid0(VALU_DEP_2) | instskip(NEXT) | instid1(VALU_DEP_1)
	v_mul_hi_u32 v1, v2, s19
	v_add_nc_u32_e32 v1, v2, v1
	s_delay_alu instid0(VALU_DEP_1) | instskip(SKIP_2) | instid1(VALU_DEP_3)
	v_lshrrev_b32_e32 v5, s20, v1
	v_mad_u64_u32 v[0:1], null, s13, s12, v[3:4]
	v_mad_u64_u32 v[3:4], null, s14, s3, v[6:7]
	v_mul_lo_u32 v1, v5, s21
	v_cmp_gt_u32_e64 s3, s18, v5
	s_delay_alu instid0(VALU_DEP_4) | instskip(NEXT) | instid1(VALU_DEP_4)
	v_cmp_gt_u32_e32 vcc_lo, s16, v0
	v_cmp_gt_u32_e64 s2, s17, v3
	s_delay_alu instid0(VALU_DEP_4) | instskip(NEXT) | instid1(VALU_DEP_2)
	v_sub_nc_u32_e32 v4, v2, v1
	s_and_b32 s2, vcc_lo, s2
	s_delay_alu instid0(SALU_CYCLE_1) | instskip(NEXT) | instid1(VALU_DEP_1)
	s_and_b32 s2, s2, s3
	v_cmp_gt_u32_e64 s4, s21, v4
	s_delay_alu instid0(VALU_DEP_1) | instskip(NEXT) | instid1(SALU_CYCLE_1)
	s_and_b32 s2, s2, s4
	s_and_saveexec_b32 s3, s2
	s_cbranch_execz .LBB37_6
; %bb.1:
	v_cmp_gt_i32_e32 vcc_lo, s16, v0
	s_and_b32 exec_lo, exec_lo, vcc_lo
	s_cbranch_execz .LBB37_6
; %bb.2:
	s_clause 0x2
	s_load_b256 s[36:43], s[0:1], 0x3c
	s_load_b256 s[4:11], s[0:1], 0x60
	s_load_b32 s13, s[0:1], 0x5c
	s_load_b32 s17, s[24:25], 0x0
	s_clause 0x3
	s_load_b128 s[24:27], s[0:1], 0x80
	s_load_b64 s[2:3], s[0:1], 0x0
	s_load_b32 s18, s[0:1], 0x38
	s_load_b64 s[14:15], s[0:1], 0x10
	s_waitcnt lgkmcnt(0)
	v_mul_hi_u32 v1, s39, v5
	v_mov_b32_e32 v2, 0
	v_mul_hi_u32 v6, s42, v4
	v_mul_hi_u32 v7, s36, v3
	v_mul_lo_u32 v8, v4, s10
	v_mul_lo_u32 v9, v5, s9
	;; [unrolled: 1-line block ×4, first 2 shown]
	v_add_nc_u32_e32 v1, v5, v1
	v_mul_lo_u32 v12, v4, s6
	v_add_nc_u32_e32 v6, v4, v6
	v_add_nc_u32_e32 v7, v3, v7
	v_mul_lo_u32 v14, v3, s4
	v_lshrrev_b32_e32 v1, s40, v1
	s_load_b64 s[8:9], s[0:1], 0x90
	s_cmp_lg_u64 s[2:3], 0
	v_lshrrev_b32_e32 v7, s37, v7
	s_delay_alu instid0(VALU_DEP_2) | instskip(SKIP_1) | instid1(VALU_DEP_3)
	v_mul_lo_u32 v11, v1, s41
	v_add3_u32 v1, v9, v10, v8
	v_mul_lo_u32 v7, v7, s38
	s_delay_alu instid0(VALU_DEP_3) | instskip(SKIP_2) | instid1(VALU_DEP_4)
	v_sub_nc_u32_e32 v8, v5, v11
	v_mov_b32_e32 v5, v2
	v_lshrrev_b32_e32 v6, s43, v6
	v_sub_nc_u32_e32 v3, v3, v7
	s_delay_alu instid0(VALU_DEP_2) | instskip(NEXT) | instid1(VALU_DEP_2)
	v_mul_lo_u32 v6, v6, s13
	v_mul_lo_u32 v9, v3, s24
	;; [unrolled: 1-line block ×3, first 2 shown]
	s_delay_alu instid0(VALU_DEP_3) | instskip(SKIP_2) | instid1(VALU_DEP_3)
	v_sub_nc_u32_e32 v4, v4, v6
	v_lshlrev_b64 v[6:7], 1, v[1:2]
	v_mul_lo_u32 v1, v8, s25
	v_mul_lo_u32 v8, v4, s26
	v_add3_u32 v4, v13, v14, v12
	s_delay_alu instid0(VALU_DEP_4) | instskip(SKIP_3) | instid1(VALU_DEP_4)
	v_add_co_u32 v10, vcc_lo, s2, v6
	v_add_co_ci_u32_e32 v6, vcc_lo, s3, v7, vcc_lo
	s_cselect_b32 vcc_lo, -1, 0
	s_mul_i32 s2, s17, s12
	v_add3_u32 v1, v1, v8, v9
	s_delay_alu instid0(VALU_DEP_2)
	v_cndmask_b32_e32 v6, 0, v6, vcc_lo
	v_lshlrev_b64 v[7:8], 1, v[4:5]
	v_cndmask_b32_e32 v5, 0, v10, vcc_lo
	s_mov_b32 s3, 0
	v_lshlrev_b64 v[9:10], 2, v[1:2]
	s_mul_i32 s4, s2, s7
	s_sub_i32 s5, 0, s18
	v_add_co_u32 v7, vcc_lo, s14, v7
	v_add_co_ci_u32_e32 v8, vcc_lo, s15, v8, vcc_lo
	s_waitcnt lgkmcnt(0)
	v_add_co_u32 v9, vcc_lo, s8, v9
	v_cmp_ne_u64_e64 s0, 0, v[5:6]
	v_add_co_ci_u32_e32 v10, vcc_lo, s9, v10, vcc_lo
	s_branch .LBB37_4
.LBB37_3:                               ;   in Loop: Header=BB37_4 Depth=1
	s_or_b32 exec_lo, exec_lo, s1
	v_mul_hi_u32 v1, s22, v0
	v_add_nc_u32_e32 v3, s4, v3
	s_delay_alu instid0(VALU_DEP_2) | instskip(NEXT) | instid1(VALU_DEP_1)
	v_add_nc_u32_e32 v1, v0, v1
	v_lshrrev_b32_e32 v1, s23, v1
	s_delay_alu instid0(VALU_DEP_1) | instskip(NEXT) | instid1(VALU_DEP_1)
	v_mad_u64_u32 v[11:12], null, s5, v1, v[0:1]
	v_mul_lo_u32 v1, v11, s11
	s_delay_alu instid0(VALU_DEP_1) | instskip(NEXT) | instid1(VALU_DEP_1)
	v_lshlrev_b64 v[11:12], 2, v[1:2]
	v_add_co_u32 v11, vcc_lo, v9, v11
	s_delay_alu instid0(VALU_DEP_2) | instskip(SKIP_4) | instid1(VALU_DEP_2)
	v_add_co_ci_u32_e32 v12, vcc_lo, v10, v12, vcc_lo
	global_load_b32 v13, v[11:12], off
	s_waitcnt vmcnt(0)
	v_div_scale_f32 v1, null, v13, v13, v4
	v_div_scale_f32 v14, vcc_lo, v4, v13, v4
	v_rcp_f32_e32 v11, v1
	s_waitcnt_depctr 0xfff
	v_fma_f32 v12, -v1, v11, 1.0
	s_delay_alu instid0(VALU_DEP_1) | instskip(NEXT) | instid1(VALU_DEP_1)
	v_fmac_f32_e32 v11, v12, v11
	v_mul_f32_e32 v12, v14, v11
	s_delay_alu instid0(VALU_DEP_1) | instskip(NEXT) | instid1(VALU_DEP_1)
	v_fma_f32 v15, -v1, v12, v14
	v_fmac_f32_e32 v12, v15, v11
	s_delay_alu instid0(VALU_DEP_1) | instskip(SKIP_1) | instid1(VALU_DEP_2)
	v_fma_f32 v14, -v1, v12, v14
	v_ashrrev_i32_e32 v1, 31, v0
	v_div_fmas_f32 v14, v14, v11, v12
	s_delay_alu instid0(VALU_DEP_2) | instskip(SKIP_1) | instid1(VALU_DEP_3)
	v_lshlrev_b64 v[11:12], 1, v[0:1]
	v_add_nc_u32_e32 v0, s2, v0
	v_div_fixup_f32 v1, v14, v13, v4
	s_delay_alu instid0(VALU_DEP_2) | instskip(NEXT) | instid1(VALU_DEP_4)
	v_cmp_le_i32_e32 vcc_lo, s16, v0
	v_add_co_u32 v11, s1, v7, v11
	s_delay_alu instid0(VALU_DEP_3)
	v_cvt_f16_f32_e32 v1, v1
	v_add_co_ci_u32_e64 v12, s1, v8, v12, s1
	s_or_b32 s3, vcc_lo, s3
	global_store_b16 v[11:12], v1, off
	s_and_not1_b32 exec_lo, exec_lo, s3
	s_cbranch_execz .LBB37_6
.LBB37_4:                               ; =>This Inner Loop Header: Depth=1
	v_mov_b32_e32 v4, 0
	s_delay_alu instid0(VALU_DEP_3)
	s_and_saveexec_b32 s1, s0
	s_cbranch_execz .LBB37_3
; %bb.5:                                ;   in Loop: Header=BB37_4 Depth=1
	v_ashrrev_i32_e32 v4, 31, v3
	s_delay_alu instid0(VALU_DEP_1) | instskip(NEXT) | instid1(VALU_DEP_1)
	v_lshlrev_b64 v[11:12], 1, v[3:4]
	v_add_co_u32 v11, vcc_lo, v5, v11
	s_delay_alu instid0(VALU_DEP_2)
	v_add_co_ci_u32_e32 v12, vcc_lo, v6, v12, vcc_lo
	global_load_u16 v1, v[11:12], off
	s_waitcnt vmcnt(0)
	v_cvt_f32_f16_e32 v4, v1
	s_branch .LBB37_3
.LBB37_6:
	s_nop 0
	s_sendmsg sendmsg(MSG_DEALLOC_VGPRS)
	s_endpgm
	.section	.rodata,"a",@progbits
	.p2align	6, 0x0
	.amdhsa_kernel _ZL11k_bin_bcastIXadL_ZL6op_divffEE6__halffS0_JPKfEEvPKT0_PKT1_PT2_iii15HIP_vector_typeIjLj3EESC_SC_SC_SC_iiiiiiiiiiiDpT3_
		.amdhsa_group_segment_fixed_size 0
		.amdhsa_private_segment_fixed_size 0
		.amdhsa_kernarg_size 408
		.amdhsa_user_sgpr_count 13
		.amdhsa_user_sgpr_dispatch_ptr 0
		.amdhsa_user_sgpr_queue_ptr 0
		.amdhsa_user_sgpr_kernarg_segment_ptr 1
		.amdhsa_user_sgpr_dispatch_id 0
		.amdhsa_user_sgpr_private_segment_size 0
		.amdhsa_wavefront_size32 1
		.amdhsa_uses_dynamic_stack 0
		.amdhsa_enable_private_segment 0
		.amdhsa_system_sgpr_workgroup_id_x 1
		.amdhsa_system_sgpr_workgroup_id_y 1
		.amdhsa_system_sgpr_workgroup_id_z 1
		.amdhsa_system_sgpr_workgroup_info 0
		.amdhsa_system_vgpr_workitem_id 2
		.amdhsa_next_free_vgpr 16
		.amdhsa_next_free_sgpr 44
		.amdhsa_reserve_vcc 1
		.amdhsa_float_round_mode_32 0
		.amdhsa_float_round_mode_16_64 0
		.amdhsa_float_denorm_mode_32 3
		.amdhsa_float_denorm_mode_16_64 3
		.amdhsa_dx10_clamp 1
		.amdhsa_ieee_mode 1
		.amdhsa_fp16_overflow 0
		.amdhsa_workgroup_processor_mode 1
		.amdhsa_memory_ordered 1
		.amdhsa_forward_progress 0
		.amdhsa_shared_vgpr_count 0
		.amdhsa_exception_fp_ieee_invalid_op 0
		.amdhsa_exception_fp_denorm_src 0
		.amdhsa_exception_fp_ieee_div_zero 0
		.amdhsa_exception_fp_ieee_overflow 0
		.amdhsa_exception_fp_ieee_underflow 0
		.amdhsa_exception_fp_ieee_inexact 0
		.amdhsa_exception_int_div_zero 0
	.end_amdhsa_kernel
	.section	.text._ZL11k_bin_bcastIXadL_ZL6op_divffEE6__halffS0_JPKfEEvPKT0_PKT1_PT2_iii15HIP_vector_typeIjLj3EESC_SC_SC_SC_iiiiiiiiiiiDpT3_,"axG",@progbits,_ZL11k_bin_bcastIXadL_ZL6op_divffEE6__halffS0_JPKfEEvPKT0_PKT1_PT2_iii15HIP_vector_typeIjLj3EESC_SC_SC_SC_iiiiiiiiiiiDpT3_,comdat
.Lfunc_end37:
	.size	_ZL11k_bin_bcastIXadL_ZL6op_divffEE6__halffS0_JPKfEEvPKT0_PKT1_PT2_iii15HIP_vector_typeIjLj3EESC_SC_SC_SC_iiiiiiiiiiiDpT3_, .Lfunc_end37-_ZL11k_bin_bcastIXadL_ZL6op_divffEE6__halffS0_JPKfEEvPKT0_PKT1_PT2_iii15HIP_vector_typeIjLj3EESC_SC_SC_SC_iiiiiiiiiiiDpT3_
                                        ; -- End function
	.section	.AMDGPU.csdata,"",@progbits
; Kernel info:
; codeLenInByte = 956
; NumSgprs: 46
; NumVgprs: 16
; ScratchSize: 0
; MemoryBound: 0
; FloatMode: 240
; IeeeMode: 1
; LDSByteSize: 0 bytes/workgroup (compile time only)
; SGPRBlocks: 5
; VGPRBlocks: 1
; NumSGPRsForWavesPerEU: 46
; NumVGPRsForWavesPerEU: 16
; Occupancy: 16
; WaveLimiterHint : 1
; COMPUTE_PGM_RSRC2:SCRATCH_EN: 0
; COMPUTE_PGM_RSRC2:USER_SGPR: 13
; COMPUTE_PGM_RSRC2:TRAP_HANDLER: 0
; COMPUTE_PGM_RSRC2:TGID_X_EN: 1
; COMPUTE_PGM_RSRC2:TGID_Y_EN: 1
; COMPUTE_PGM_RSRC2:TGID_Z_EN: 1
; COMPUTE_PGM_RSRC2:TIDIG_COMP_CNT: 2
	.section	.text._ZL19k_bin_bcast_unravelIXadL_ZL6op_divffEE6__halfffJPKfEEvPKT0_PKT1_PT2_15HIP_vector_typeIjLj3EESC_SC_jSC_SC_SC_SC_SC_SC_iiiiiiiiiiiDpT3_,"axG",@progbits,_ZL19k_bin_bcast_unravelIXadL_ZL6op_divffEE6__halfffJPKfEEvPKT0_PKT1_PT2_15HIP_vector_typeIjLj3EESC_SC_jSC_SC_SC_SC_SC_SC_iiiiiiiiiiiDpT3_,comdat
	.globl	_ZL19k_bin_bcast_unravelIXadL_ZL6op_divffEE6__halfffJPKfEEvPKT0_PKT1_PT2_15HIP_vector_typeIjLj3EESC_SC_jSC_SC_SC_SC_SC_SC_iiiiiiiiiiiDpT3_ ; -- Begin function _ZL19k_bin_bcast_unravelIXadL_ZL6op_divffEE6__halfffJPKfEEvPKT0_PKT1_PT2_15HIP_vector_typeIjLj3EESC_SC_jSC_SC_SC_SC_SC_SC_iiiiiiiiiiiDpT3_
	.p2align	8
	.type	_ZL19k_bin_bcast_unravelIXadL_ZL6op_divffEE6__halfffJPKfEEvPKT0_PKT1_PT2_15HIP_vector_typeIjLj3EESC_SC_jSC_SC_SC_SC_SC_SC_iiiiiiiiiiiDpT3_,@function
_ZL19k_bin_bcast_unravelIXadL_ZL6op_divffEE6__halfffJPKfEEvPKT0_PKT1_PT2_15HIP_vector_typeIjLj3EESC_SC_jSC_SC_SC_SC_SC_SC_iiiiiiiiiiiDpT3_: ; @_ZL19k_bin_bcast_unravelIXadL_ZL6op_divffEE6__halfffJPKfEEvPKT0_PKT1_PT2_15HIP_vector_typeIjLj3EESC_SC_jSC_SC_SC_SC_SC_SC_iiiiiiiiiiiDpT3_
; %bb.0:
	s_clause 0x1
	s_load_b32 s2, s[0:1], 0xcc
	s_load_b256 s[4:11], s[0:1], 0x38
	s_waitcnt lgkmcnt(0)
	s_and_b32 s2, s2, 0xffff
	s_delay_alu instid0(SALU_CYCLE_1) | instskip(SKIP_3) | instid1(VALU_DEP_1)
	v_mad_u64_u32 v[2:3], null, s15, s2, v[0:1]
	s_clause 0x1
	s_load_b128 s[12:15], s[0:1], 0x18
	s_load_b32 s2, s[0:1], 0x2c
	v_mul_hi_u32 v0, v2, s6
	s_delay_alu instid0(VALU_DEP_1) | instskip(NEXT) | instid1(VALU_DEP_1)
	v_add_nc_u32_e32 v0, v2, v0
	v_lshrrev_b32_e32 v1, s7, v0
	s_delay_alu instid0(VALU_DEP_1) | instskip(NEXT) | instid1(VALU_DEP_1)
	v_mul_lo_u32 v0, v1, s8
	v_sub_nc_u32_e32 v0, v2, v0
	s_delay_alu instid0(VALU_DEP_1) | instskip(NEXT) | instid1(VALU_DEP_1)
	v_mul_hi_u32 v2, v0, s9
	v_add_nc_u32_e32 v2, v0, v2
	s_delay_alu instid0(VALU_DEP_1) | instskip(NEXT) | instid1(VALU_DEP_1)
	v_lshrrev_b32_e32 v2, s10, v2
	v_mul_lo_u32 v3, v2, s11
	v_cmp_gt_u32_e64 s3, s4, v2
	v_cmp_gt_u32_e64 s4, s5, v1
	s_delay_alu instid0(VALU_DEP_3) | instskip(SKIP_1) | instid1(VALU_DEP_1)
	v_sub_nc_u32_e32 v0, v0, v3
	s_waitcnt lgkmcnt(0)
	v_mul_hi_u32 v3, v0, s12
	s_delay_alu instid0(VALU_DEP_1) | instskip(NEXT) | instid1(VALU_DEP_1)
	v_add_nc_u32_e32 v3, v0, v3
	v_lshrrev_b32_e32 v3, s13, v3
	s_delay_alu instid0(VALU_DEP_1) | instskip(SKIP_1) | instid1(VALU_DEP_2)
	v_mul_lo_u32 v4, v3, s14
	v_cmp_gt_u32_e64 s2, s2, v3
	v_sub_nc_u32_e32 v0, v0, v4
	s_delay_alu instid0(VALU_DEP_1) | instskip(NEXT) | instid1(VALU_DEP_3)
	v_cmp_gt_u32_e32 vcc_lo, s14, v0
	s_and_b32 s2, vcc_lo, s2
	s_delay_alu instid0(SALU_CYCLE_1) | instskip(NEXT) | instid1(SALU_CYCLE_1)
	s_and_b32 s2, s2, s3
	s_and_b32 s2, s4, s2
	s_delay_alu instid0(SALU_CYCLE_1)
	s_and_saveexec_b32 s3, s2
	s_cbranch_execz .LBB38_5
; %bb.1:
	s_clause 0x4
	s_load_b64 s[2:3], s[0:1], 0x0
	s_load_b128 s[20:23], s[0:1], 0xa8
	s_load_b256 s[4:11], s[0:1], 0x88
	s_load_b128 s[24:27], s[0:1], 0x78
	s_load_b256 s[12:19], s[0:1], 0x58
	s_waitcnt lgkmcnt(0)
	s_cmp_eq_u64 s[2:3], 0
	s_cbranch_scc1 .LBB38_3
; %bb.2:
	v_mul_lo_u32 v4, v1, s10
	v_mul_lo_u32 v6, v2, s9
	;; [unrolled: 1-line block ×3, first 2 shown]
	v_mov_b32_e32 v5, 0
	s_delay_alu instid0(VALU_DEP_2) | instskip(NEXT) | instid1(VALU_DEP_1)
	v_add3_u32 v4, v6, v4, v7
	v_lshlrev_b64 v[6:7], 1, v[4:5]
	v_mul_lo_u32 v4, v0, s7
	s_delay_alu instid0(VALU_DEP_2) | instskip(NEXT) | instid1(VALU_DEP_3)
	v_add_co_u32 v6, vcc_lo, s2, v6
	v_add_co_ci_u32_e32 v7, vcc_lo, s3, v7, vcc_lo
	s_delay_alu instid0(VALU_DEP_3) | instskip(NEXT) | instid1(VALU_DEP_1)
	v_lshlrev_b64 v[4:5], 1, v[4:5]
	v_add_co_u32 v4, vcc_lo, v6, v4
	s_delay_alu instid0(VALU_DEP_2)
	v_add_co_ci_u32_e32 v5, vcc_lo, v7, v5, vcc_lo
	global_load_u16 v4, v[4:5], off
	s_waitcnt vmcnt(0)
	v_cvt_f32_f16_e32 v4, v4
	s_branch .LBB38_4
.LBB38_3:
	v_mov_b32_e32 v4, 0
.LBB38_4:
	v_mul_hi_u32 v7, s15, v3
	v_mul_hi_u32 v5, s25, v1
	;; [unrolled: 1-line block ×4, first 2 shown]
	v_mul_lo_u32 v10, v3, s4
	s_clause 0x1
	s_load_b64 s[2:3], s[0:1], 0xb8
	s_load_b64 s[0:1], s[0:1], 0x10
	v_add_nc_u32_e32 v7, v3, v7
	v_add_nc_u32_e32 v5, v1, v5
	;; [unrolled: 1-line block ×4, first 2 shown]
	s_delay_alu instid0(VALU_DEP_4) | instskip(NEXT) | instid1(VALU_DEP_4)
	v_lshrrev_b32_e32 v7, s16, v7
	v_lshrrev_b32_e32 v5, s26, v5
	s_delay_alu instid0(VALU_DEP_4) | instskip(NEXT) | instid1(VALU_DEP_3)
	v_lshrrev_b32_e32 v6, s19, v6
	v_mul_lo_u32 v7, v7, s17
	s_delay_alu instid0(VALU_DEP_3) | instskip(NEXT) | instid1(VALU_DEP_3)
	v_mul_lo_u32 v5, v5, s27
	v_mul_lo_u32 v6, v6, s24
	s_delay_alu instid0(VALU_DEP_3)
	v_sub_nc_u32_e32 v7, v3, v7
	v_mov_b32_e32 v3, 0
	v_lshrrev_b32_e32 v8, s13, v8
	v_sub_nc_u32_e32 v5, v1, v5
	v_sub_nc_u32_e32 v6, v2, v6
	v_mul_lo_u32 v7, v7, s20
	v_mul_lo_u32 v1, v1, s6
	v_mul_lo_u32 v8, v8, s14
	v_mul_lo_u32 v5, v5, s22
	v_mul_lo_u32 v6, v6, s21
	v_mul_lo_u32 v2, v2, s5
	s_delay_alu instid0(VALU_DEP_4) | instskip(NEXT) | instid1(VALU_DEP_3)
	v_sub_nc_u32_e32 v8, v0, v8
	v_add3_u32 v5, v6, v5, v7
	s_delay_alu instid0(VALU_DEP_3) | instskip(SKIP_1) | instid1(VALU_DEP_4)
	v_add3_u32 v2, v2, v1, v10
	v_mov_b32_e32 v1, v3
	v_mul_lo_u32 v7, v8, s11
	s_delay_alu instid0(VALU_DEP_4) | instskip(NEXT) | instid1(VALU_DEP_4)
	v_ashrrev_i32_e32 v6, 31, v5
	v_lshlrev_b64 v[2:3], 2, v[2:3]
	s_delay_alu instid0(VALU_DEP_4) | instskip(NEXT) | instid1(VALU_DEP_3)
	v_lshlrev_b64 v[0:1], 2, v[0:1]
	v_lshlrev_b64 v[5:6], 2, v[5:6]
	v_ashrrev_i32_e32 v8, 31, v7
	s_delay_alu instid0(VALU_DEP_1) | instskip(SKIP_1) | instid1(VALU_DEP_3)
	v_lshlrev_b64 v[7:8], 2, v[7:8]
	s_waitcnt lgkmcnt(0)
	v_add_co_u32 v5, vcc_lo, s2, v5
	s_delay_alu instid0(VALU_DEP_4) | instskip(NEXT) | instid1(VALU_DEP_2)
	v_add_co_ci_u32_e32 v6, vcc_lo, s3, v6, vcc_lo
	v_add_co_u32 v5, vcc_lo, v5, v7
	s_delay_alu instid0(VALU_DEP_2) | instskip(SKIP_4) | instid1(VALU_DEP_2)
	v_add_co_ci_u32_e32 v6, vcc_lo, v6, v8, vcc_lo
	global_load_b32 v5, v[5:6], off
	s_waitcnt vmcnt(0)
	v_div_scale_f32 v6, null, v5, v5, v4
	v_div_scale_f32 v9, vcc_lo, v4, v5, v4
	v_rcp_f32_e32 v7, v6
	s_waitcnt_depctr 0xfff
	v_fma_f32 v8, -v6, v7, 1.0
	s_delay_alu instid0(VALU_DEP_1) | instskip(NEXT) | instid1(VALU_DEP_1)
	v_fmac_f32_e32 v7, v8, v7
	v_mul_f32_e32 v8, v9, v7
	s_delay_alu instid0(VALU_DEP_1) | instskip(NEXT) | instid1(VALU_DEP_1)
	v_fma_f32 v11, -v6, v8, v9
	v_fmac_f32_e32 v8, v11, v7
	s_delay_alu instid0(VALU_DEP_1) | instskip(NEXT) | instid1(VALU_DEP_1)
	v_fma_f32 v6, -v6, v8, v9
	v_div_fmas_f32 v6, v6, v7, v8
	v_add_co_u32 v2, vcc_lo, s0, v2
	v_add_co_ci_u32_e32 v3, vcc_lo, s1, v3, vcc_lo
	s_delay_alu instid0(VALU_DEP_3) | instskip(NEXT) | instid1(VALU_DEP_3)
	v_div_fixup_f32 v4, v6, v5, v4
	v_add_co_u32 v0, vcc_lo, v2, v0
	s_delay_alu instid0(VALU_DEP_3)
	v_add_co_ci_u32_e32 v1, vcc_lo, v3, v1, vcc_lo
	global_store_b32 v[0:1], v4, off
.LBB38_5:
	s_nop 0
	s_sendmsg sendmsg(MSG_DEALLOC_VGPRS)
	s_endpgm
	.section	.rodata,"a",@progbits
	.p2align	6, 0x0
	.amdhsa_kernel _ZL19k_bin_bcast_unravelIXadL_ZL6op_divffEE6__halfffJPKfEEvPKT0_PKT1_PT2_15HIP_vector_typeIjLj3EESC_SC_jSC_SC_SC_SC_SC_SC_iiiiiiiiiiiDpT3_
		.amdhsa_group_segment_fixed_size 0
		.amdhsa_private_segment_fixed_size 0
		.amdhsa_kernarg_size 448
		.amdhsa_user_sgpr_count 15
		.amdhsa_user_sgpr_dispatch_ptr 0
		.amdhsa_user_sgpr_queue_ptr 0
		.amdhsa_user_sgpr_kernarg_segment_ptr 1
		.amdhsa_user_sgpr_dispatch_id 0
		.amdhsa_user_sgpr_private_segment_size 0
		.amdhsa_wavefront_size32 1
		.amdhsa_uses_dynamic_stack 0
		.amdhsa_enable_private_segment 0
		.amdhsa_system_sgpr_workgroup_id_x 1
		.amdhsa_system_sgpr_workgroup_id_y 0
		.amdhsa_system_sgpr_workgroup_id_z 0
		.amdhsa_system_sgpr_workgroup_info 0
		.amdhsa_system_vgpr_workitem_id 0
		.amdhsa_next_free_vgpr 12
		.amdhsa_next_free_sgpr 28
		.amdhsa_reserve_vcc 1
		.amdhsa_float_round_mode_32 0
		.amdhsa_float_round_mode_16_64 0
		.amdhsa_float_denorm_mode_32 3
		.amdhsa_float_denorm_mode_16_64 3
		.amdhsa_dx10_clamp 1
		.amdhsa_ieee_mode 1
		.amdhsa_fp16_overflow 0
		.amdhsa_workgroup_processor_mode 1
		.amdhsa_memory_ordered 1
		.amdhsa_forward_progress 0
		.amdhsa_shared_vgpr_count 0
		.amdhsa_exception_fp_ieee_invalid_op 0
		.amdhsa_exception_fp_denorm_src 0
		.amdhsa_exception_fp_ieee_div_zero 0
		.amdhsa_exception_fp_ieee_overflow 0
		.amdhsa_exception_fp_ieee_underflow 0
		.amdhsa_exception_fp_ieee_inexact 0
		.amdhsa_exception_int_div_zero 0
	.end_amdhsa_kernel
	.section	.text._ZL19k_bin_bcast_unravelIXadL_ZL6op_divffEE6__halfffJPKfEEvPKT0_PKT1_PT2_15HIP_vector_typeIjLj3EESC_SC_jSC_SC_SC_SC_SC_SC_iiiiiiiiiiiDpT3_,"axG",@progbits,_ZL19k_bin_bcast_unravelIXadL_ZL6op_divffEE6__halfffJPKfEEvPKT0_PKT1_PT2_15HIP_vector_typeIjLj3EESC_SC_jSC_SC_SC_SC_SC_SC_iiiiiiiiiiiDpT3_,comdat
.Lfunc_end38:
	.size	_ZL19k_bin_bcast_unravelIXadL_ZL6op_divffEE6__halfffJPKfEEvPKT0_PKT1_PT2_15HIP_vector_typeIjLj3EESC_SC_jSC_SC_SC_SC_SC_SC_iiiiiiiiiiiDpT3_, .Lfunc_end38-_ZL19k_bin_bcast_unravelIXadL_ZL6op_divffEE6__halfffJPKfEEvPKT0_PKT1_PT2_15HIP_vector_typeIjLj3EESC_SC_jSC_SC_SC_SC_SC_SC_iiiiiiiiiiiDpT3_
                                        ; -- End function
	.section	.AMDGPU.csdata,"",@progbits
; Kernel info:
; codeLenInByte = 896
; NumSgprs: 30
; NumVgprs: 12
; ScratchSize: 0
; MemoryBound: 0
; FloatMode: 240
; IeeeMode: 1
; LDSByteSize: 0 bytes/workgroup (compile time only)
; SGPRBlocks: 3
; VGPRBlocks: 1
; NumSGPRsForWavesPerEU: 30
; NumVGPRsForWavesPerEU: 12
; Occupancy: 16
; WaveLimiterHint : 1
; COMPUTE_PGM_RSRC2:SCRATCH_EN: 0
; COMPUTE_PGM_RSRC2:USER_SGPR: 15
; COMPUTE_PGM_RSRC2:TRAP_HANDLER: 0
; COMPUTE_PGM_RSRC2:TGID_X_EN: 1
; COMPUTE_PGM_RSRC2:TGID_Y_EN: 0
; COMPUTE_PGM_RSRC2:TGID_Z_EN: 0
; COMPUTE_PGM_RSRC2:TIDIG_COMP_CNT: 0
	.section	.text._ZL11k_bin_bcastIXadL_ZL6op_divffEE6__halfffJPKfEEvPKT0_PKT1_PT2_iii15HIP_vector_typeIjLj3EESC_SC_SC_SC_iiiiiiiiiiiDpT3_,"axG",@progbits,_ZL11k_bin_bcastIXadL_ZL6op_divffEE6__halfffJPKfEEvPKT0_PKT1_PT2_iii15HIP_vector_typeIjLj3EESC_SC_SC_SC_iiiiiiiiiiiDpT3_,comdat
	.globl	_ZL11k_bin_bcastIXadL_ZL6op_divffEE6__halfffJPKfEEvPKT0_PKT1_PT2_iii15HIP_vector_typeIjLj3EESC_SC_SC_SC_iiiiiiiiiiiDpT3_ ; -- Begin function _ZL11k_bin_bcastIXadL_ZL6op_divffEE6__halfffJPKfEEvPKT0_PKT1_PT2_iii15HIP_vector_typeIjLj3EESC_SC_SC_SC_iiiiiiiiiiiDpT3_
	.p2align	8
	.type	_ZL11k_bin_bcastIXadL_ZL6op_divffEE6__halfffJPKfEEvPKT0_PKT1_PT2_iii15HIP_vector_typeIjLj3EESC_SC_SC_SC_iiiiiiiiiiiDpT3_,@function
_ZL11k_bin_bcastIXadL_ZL6op_divffEE6__halfffJPKfEEvPKT0_PKT1_PT2_iii15HIP_vector_typeIjLj3EESC_SC_SC_SC_iiiiiiiiiiiDpT3_: ; @_ZL11k_bin_bcastIXadL_ZL6op_divffEE6__halfffJPKfEEvPKT0_PKT1_PT2_iii15HIP_vector_typeIjLj3EESC_SC_SC_SC_iiiiiiiiiiiDpT3_
; %bb.0:
	s_clause 0x1
	s_load_b64 s[2:3], s[0:1], 0xa4
	s_load_b256 s[16:23], s[0:1], 0x18
	v_bfe_u32 v1, v0, 20, 10
	s_add_u32 s24, s0, 0x98
	s_addc_u32 s25, s1, 0
	v_bfe_u32 v6, v0, 10, 10
	s_waitcnt lgkmcnt(0)
	s_and_b32 s3, s3, 0xffff
	s_and_b32 s12, s2, 0xffff
	v_mad_u64_u32 v[2:3], null, s15, s3, v[1:2]
	v_and_b32_e32 v3, 0x3ff, v0
	s_lshr_b32 s3, s2, 16
	s_delay_alu instid0(VALU_DEP_2) | instskip(NEXT) | instid1(VALU_DEP_1)
	v_mul_hi_u32 v1, v2, s19
	v_add_nc_u32_e32 v1, v2, v1
	s_delay_alu instid0(VALU_DEP_1) | instskip(SKIP_2) | instid1(VALU_DEP_3)
	v_lshrrev_b32_e32 v5, s20, v1
	v_mad_u64_u32 v[0:1], null, s13, s12, v[3:4]
	v_mad_u64_u32 v[3:4], null, s14, s3, v[6:7]
	v_mul_lo_u32 v1, v5, s21
	v_cmp_gt_u32_e64 s3, s18, v5
	s_delay_alu instid0(VALU_DEP_4) | instskip(NEXT) | instid1(VALU_DEP_4)
	v_cmp_gt_u32_e32 vcc_lo, s16, v0
	v_cmp_gt_u32_e64 s2, s17, v3
	s_delay_alu instid0(VALU_DEP_4) | instskip(NEXT) | instid1(VALU_DEP_2)
	v_sub_nc_u32_e32 v4, v2, v1
	s_and_b32 s2, vcc_lo, s2
	s_delay_alu instid0(SALU_CYCLE_1) | instskip(NEXT) | instid1(VALU_DEP_1)
	s_and_b32 s2, s2, s3
	v_cmp_gt_u32_e64 s4, s21, v4
	s_delay_alu instid0(VALU_DEP_1) | instskip(NEXT) | instid1(SALU_CYCLE_1)
	s_and_b32 s2, s2, s4
	s_and_saveexec_b32 s3, s2
	s_cbranch_execz .LBB39_6
; %bb.1:
	v_cmp_gt_i32_e32 vcc_lo, s16, v0
	s_and_b32 exec_lo, exec_lo, vcc_lo
	s_cbranch_execz .LBB39_6
; %bb.2:
	s_clause 0x2
	s_load_b256 s[36:43], s[0:1], 0x3c
	s_load_b256 s[4:11], s[0:1], 0x60
	s_load_b32 s13, s[0:1], 0x5c
	s_load_b32 s17, s[24:25], 0x0
	s_clause 0x3
	s_load_b128 s[24:27], s[0:1], 0x80
	s_load_b64 s[2:3], s[0:1], 0x0
	s_load_b32 s18, s[0:1], 0x38
	s_load_b64 s[14:15], s[0:1], 0x10
	s_waitcnt lgkmcnt(0)
	v_mul_hi_u32 v1, s39, v5
	v_mov_b32_e32 v2, 0
	v_mul_hi_u32 v6, s42, v4
	v_mul_hi_u32 v7, s36, v3
	v_mul_lo_u32 v8, v4, s10
	v_mul_lo_u32 v9, v5, s9
	;; [unrolled: 1-line block ×4, first 2 shown]
	v_add_nc_u32_e32 v1, v5, v1
	v_mul_lo_u32 v12, v4, s6
	v_add_nc_u32_e32 v6, v4, v6
	v_add_nc_u32_e32 v7, v3, v7
	v_mul_lo_u32 v14, v3, s4
	v_lshrrev_b32_e32 v1, s40, v1
	s_load_b64 s[8:9], s[0:1], 0x90
	s_cmp_lg_u64 s[2:3], 0
	v_lshrrev_b32_e32 v7, s37, v7
	s_delay_alu instid0(VALU_DEP_2) | instskip(SKIP_1) | instid1(VALU_DEP_3)
	v_mul_lo_u32 v11, v1, s41
	v_add3_u32 v1, v9, v10, v8
	v_mul_lo_u32 v7, v7, s38
	s_delay_alu instid0(VALU_DEP_3) | instskip(SKIP_2) | instid1(VALU_DEP_4)
	v_sub_nc_u32_e32 v8, v5, v11
	v_mov_b32_e32 v5, v2
	v_lshrrev_b32_e32 v6, s43, v6
	v_sub_nc_u32_e32 v3, v3, v7
	s_delay_alu instid0(VALU_DEP_2) | instskip(NEXT) | instid1(VALU_DEP_2)
	v_mul_lo_u32 v6, v6, s13
	v_mul_lo_u32 v9, v3, s24
	v_mul_lo_u32 v3, s7, v0
	s_delay_alu instid0(VALU_DEP_3) | instskip(SKIP_2) | instid1(VALU_DEP_3)
	v_sub_nc_u32_e32 v4, v4, v6
	v_lshlrev_b64 v[6:7], 1, v[1:2]
	v_mul_lo_u32 v1, v8, s25
	v_mul_lo_u32 v8, v4, s26
	v_add3_u32 v4, v13, v14, v12
	s_delay_alu instid0(VALU_DEP_4) | instskip(SKIP_3) | instid1(VALU_DEP_4)
	v_add_co_u32 v10, vcc_lo, s2, v6
	v_add_co_ci_u32_e32 v6, vcc_lo, s3, v7, vcc_lo
	s_cselect_b32 vcc_lo, -1, 0
	s_mul_i32 s2, s17, s12
	v_add3_u32 v1, v1, v8, v9
	s_delay_alu instid0(VALU_DEP_2)
	v_cndmask_b32_e32 v6, 0, v6, vcc_lo
	v_lshlrev_b64 v[7:8], 2, v[4:5]
	v_cndmask_b32_e32 v5, 0, v10, vcc_lo
	s_mov_b32 s3, 0
	v_lshlrev_b64 v[9:10], 2, v[1:2]
	s_mul_i32 s4, s2, s7
	s_sub_i32 s5, 0, s18
	v_add_co_u32 v7, vcc_lo, s14, v7
	v_add_co_ci_u32_e32 v8, vcc_lo, s15, v8, vcc_lo
	s_waitcnt lgkmcnt(0)
	v_add_co_u32 v9, vcc_lo, s8, v9
	v_cmp_ne_u64_e64 s0, 0, v[5:6]
	v_add_co_ci_u32_e32 v10, vcc_lo, s9, v10, vcc_lo
	s_branch .LBB39_4
.LBB39_3:                               ;   in Loop: Header=BB39_4 Depth=1
	s_or_b32 exec_lo, exec_lo, s1
	v_mul_hi_u32 v1, s22, v0
	v_add_nc_u32_e32 v3, s4, v3
	s_delay_alu instid0(VALU_DEP_2) | instskip(NEXT) | instid1(VALU_DEP_1)
	v_add_nc_u32_e32 v1, v0, v1
	v_lshrrev_b32_e32 v1, s23, v1
	s_delay_alu instid0(VALU_DEP_1) | instskip(NEXT) | instid1(VALU_DEP_1)
	v_mad_u64_u32 v[11:12], null, s5, v1, v[0:1]
	v_mul_lo_u32 v1, v11, s11
	s_delay_alu instid0(VALU_DEP_1) | instskip(NEXT) | instid1(VALU_DEP_1)
	v_lshlrev_b64 v[11:12], 2, v[1:2]
	v_add_co_u32 v11, vcc_lo, v9, v11
	s_delay_alu instid0(VALU_DEP_2) | instskip(SKIP_4) | instid1(VALU_DEP_2)
	v_add_co_ci_u32_e32 v12, vcc_lo, v10, v12, vcc_lo
	global_load_b32 v13, v[11:12], off
	s_waitcnt vmcnt(0)
	v_div_scale_f32 v11, null, v13, v13, v4
	v_div_scale_f32 v12, vcc_lo, v4, v13, v4
	v_rcp_f32_e32 v14, v11
	s_waitcnt_depctr 0xfff
	v_fma_f32 v1, -v11, v14, 1.0
	s_delay_alu instid0(VALU_DEP_1) | instskip(NEXT) | instid1(VALU_DEP_1)
	v_fmac_f32_e32 v14, v1, v14
	v_mul_f32_e32 v15, v12, v14
	s_delay_alu instid0(VALU_DEP_1) | instskip(NEXT) | instid1(VALU_DEP_1)
	v_fma_f32 v1, -v11, v15, v12
	v_fmac_f32_e32 v15, v1, v14
	v_ashrrev_i32_e32 v1, 31, v0
	s_delay_alu instid0(VALU_DEP_2) | instskip(NEXT) | instid1(VALU_DEP_2)
	v_fma_f32 v16, -v11, v15, v12
	v_lshlrev_b64 v[11:12], 2, v[0:1]
	v_add_nc_u32_e32 v0, s2, v0
	s_delay_alu instid0(VALU_DEP_3) | instskip(NEXT) | instid1(VALU_DEP_2)
	v_div_fmas_f32 v1, v16, v14, v15
	v_cmp_le_i32_e32 vcc_lo, s16, v0
	s_delay_alu instid0(VALU_DEP_4) | instskip(NEXT) | instid1(VALU_DEP_3)
	v_add_co_u32 v11, s1, v7, v11
	v_div_fixup_f32 v1, v1, v13, v4
	v_add_co_ci_u32_e64 v12, s1, v8, v12, s1
	s_or_b32 s3, vcc_lo, s3
	global_store_b32 v[11:12], v1, off
	s_and_not1_b32 exec_lo, exec_lo, s3
	s_cbranch_execz .LBB39_6
.LBB39_4:                               ; =>This Inner Loop Header: Depth=1
	v_mov_b32_e32 v4, 0
	s_delay_alu instid0(VALU_DEP_3)
	s_and_saveexec_b32 s1, s0
	s_cbranch_execz .LBB39_3
; %bb.5:                                ;   in Loop: Header=BB39_4 Depth=1
	v_ashrrev_i32_e32 v4, 31, v3
	s_delay_alu instid0(VALU_DEP_1) | instskip(NEXT) | instid1(VALU_DEP_1)
	v_lshlrev_b64 v[11:12], 1, v[3:4]
	v_add_co_u32 v11, vcc_lo, v5, v11
	s_delay_alu instid0(VALU_DEP_2)
	v_add_co_ci_u32_e32 v12, vcc_lo, v6, v12, vcc_lo
	global_load_u16 v1, v[11:12], off
	s_waitcnt vmcnt(0)
	v_cvt_f32_f16_e32 v4, v1
	s_branch .LBB39_3
.LBB39_6:
	s_nop 0
	s_sendmsg sendmsg(MSG_DEALLOC_VGPRS)
	s_endpgm
	.section	.rodata,"a",@progbits
	.p2align	6, 0x0
	.amdhsa_kernel _ZL11k_bin_bcastIXadL_ZL6op_divffEE6__halfffJPKfEEvPKT0_PKT1_PT2_iii15HIP_vector_typeIjLj3EESC_SC_SC_SC_iiiiiiiiiiiDpT3_
		.amdhsa_group_segment_fixed_size 0
		.amdhsa_private_segment_fixed_size 0
		.amdhsa_kernarg_size 408
		.amdhsa_user_sgpr_count 13
		.amdhsa_user_sgpr_dispatch_ptr 0
		.amdhsa_user_sgpr_queue_ptr 0
		.amdhsa_user_sgpr_kernarg_segment_ptr 1
		.amdhsa_user_sgpr_dispatch_id 0
		.amdhsa_user_sgpr_private_segment_size 0
		.amdhsa_wavefront_size32 1
		.amdhsa_uses_dynamic_stack 0
		.amdhsa_enable_private_segment 0
		.amdhsa_system_sgpr_workgroup_id_x 1
		.amdhsa_system_sgpr_workgroup_id_y 1
		.amdhsa_system_sgpr_workgroup_id_z 1
		.amdhsa_system_sgpr_workgroup_info 0
		.amdhsa_system_vgpr_workitem_id 2
		.amdhsa_next_free_vgpr 17
		.amdhsa_next_free_sgpr 44
		.amdhsa_reserve_vcc 1
		.amdhsa_float_round_mode_32 0
		.amdhsa_float_round_mode_16_64 0
		.amdhsa_float_denorm_mode_32 3
		.amdhsa_float_denorm_mode_16_64 3
		.amdhsa_dx10_clamp 1
		.amdhsa_ieee_mode 1
		.amdhsa_fp16_overflow 0
		.amdhsa_workgroup_processor_mode 1
		.amdhsa_memory_ordered 1
		.amdhsa_forward_progress 0
		.amdhsa_shared_vgpr_count 0
		.amdhsa_exception_fp_ieee_invalid_op 0
		.amdhsa_exception_fp_denorm_src 0
		.amdhsa_exception_fp_ieee_div_zero 0
		.amdhsa_exception_fp_ieee_overflow 0
		.amdhsa_exception_fp_ieee_underflow 0
		.amdhsa_exception_fp_ieee_inexact 0
		.amdhsa_exception_int_div_zero 0
	.end_amdhsa_kernel
	.section	.text._ZL11k_bin_bcastIXadL_ZL6op_divffEE6__halfffJPKfEEvPKT0_PKT1_PT2_iii15HIP_vector_typeIjLj3EESC_SC_SC_SC_iiiiiiiiiiiDpT3_,"axG",@progbits,_ZL11k_bin_bcastIXadL_ZL6op_divffEE6__halfffJPKfEEvPKT0_PKT1_PT2_iii15HIP_vector_typeIjLj3EESC_SC_SC_SC_iiiiiiiiiiiDpT3_,comdat
.Lfunc_end39:
	.size	_ZL11k_bin_bcastIXadL_ZL6op_divffEE6__halfffJPKfEEvPKT0_PKT1_PT2_iii15HIP_vector_typeIjLj3EESC_SC_SC_SC_iiiiiiiiiiiDpT3_, .Lfunc_end39-_ZL11k_bin_bcastIXadL_ZL6op_divffEE6__halfffJPKfEEvPKT0_PKT1_PT2_iii15HIP_vector_typeIjLj3EESC_SC_SC_SC_iiiiiiiiiiiDpT3_
                                        ; -- End function
	.section	.AMDGPU.csdata,"",@progbits
; Kernel info:
; codeLenInByte = 948
; NumSgprs: 46
; NumVgprs: 17
; ScratchSize: 0
; MemoryBound: 0
; FloatMode: 240
; IeeeMode: 1
; LDSByteSize: 0 bytes/workgroup (compile time only)
; SGPRBlocks: 5
; VGPRBlocks: 2
; NumSGPRsForWavesPerEU: 46
; NumVGPRsForWavesPerEU: 17
; Occupancy: 16
; WaveLimiterHint : 1
; COMPUTE_PGM_RSRC2:SCRATCH_EN: 0
; COMPUTE_PGM_RSRC2:USER_SGPR: 13
; COMPUTE_PGM_RSRC2:TRAP_HANDLER: 0
; COMPUTE_PGM_RSRC2:TGID_X_EN: 1
; COMPUTE_PGM_RSRC2:TGID_Y_EN: 1
; COMPUTE_PGM_RSRC2:TGID_Z_EN: 1
; COMPUTE_PGM_RSRC2:TIDIG_COMP_CNT: 2
	.section	.text._ZL19k_bin_bcast_unravelIXadL_ZL6op_addffEEfffJPKfS1_EEvPKT0_PKT1_PT2_15HIP_vector_typeIjLj3EESB_SB_jSB_SB_SB_SB_SB_SB_iiiiiiiiiiiDpT3_,"axG",@progbits,_ZL19k_bin_bcast_unravelIXadL_ZL6op_addffEEfffJPKfS1_EEvPKT0_PKT1_PT2_15HIP_vector_typeIjLj3EESB_SB_jSB_SB_SB_SB_SB_SB_iiiiiiiiiiiDpT3_,comdat
	.globl	_ZL19k_bin_bcast_unravelIXadL_ZL6op_addffEEfffJPKfS1_EEvPKT0_PKT1_PT2_15HIP_vector_typeIjLj3EESB_SB_jSB_SB_SB_SB_SB_SB_iiiiiiiiiiiDpT3_ ; -- Begin function _ZL19k_bin_bcast_unravelIXadL_ZL6op_addffEEfffJPKfS1_EEvPKT0_PKT1_PT2_15HIP_vector_typeIjLj3EESB_SB_jSB_SB_SB_SB_SB_SB_iiiiiiiiiiiDpT3_
	.p2align	8
	.type	_ZL19k_bin_bcast_unravelIXadL_ZL6op_addffEEfffJPKfS1_EEvPKT0_PKT1_PT2_15HIP_vector_typeIjLj3EESB_SB_jSB_SB_SB_SB_SB_SB_iiiiiiiiiiiDpT3_,@function
_ZL19k_bin_bcast_unravelIXadL_ZL6op_addffEEfffJPKfS1_EEvPKT0_PKT1_PT2_15HIP_vector_typeIjLj3EESB_SB_jSB_SB_SB_SB_SB_SB_iiiiiiiiiiiDpT3_: ; @_ZL19k_bin_bcast_unravelIXadL_ZL6op_addffEEfffJPKfS1_EEvPKT0_PKT1_PT2_15HIP_vector_typeIjLj3EESB_SB_jSB_SB_SB_SB_SB_SB_iiiiiiiiiiiDpT3_
; %bb.0:
	s_clause 0x1
	s_load_b32 s2, s[0:1], 0xd4
	s_load_b256 s[4:11], s[0:1], 0x38
	s_waitcnt lgkmcnt(0)
	s_and_b32 s2, s2, 0xffff
	s_delay_alu instid0(SALU_CYCLE_1) | instskip(SKIP_3) | instid1(VALU_DEP_1)
	v_mad_u64_u32 v[2:3], null, s15, s2, v[0:1]
	s_clause 0x1
	s_load_b128 s[12:15], s[0:1], 0x18
	s_load_b32 s2, s[0:1], 0x2c
	v_mul_hi_u32 v0, v2, s6
	s_delay_alu instid0(VALU_DEP_1) | instskip(NEXT) | instid1(VALU_DEP_1)
	v_add_nc_u32_e32 v0, v2, v0
	v_lshrrev_b32_e32 v1, s7, v0
	s_delay_alu instid0(VALU_DEP_1) | instskip(NEXT) | instid1(VALU_DEP_1)
	v_mul_lo_u32 v0, v1, s8
	v_sub_nc_u32_e32 v0, v2, v0
	s_delay_alu instid0(VALU_DEP_1) | instskip(NEXT) | instid1(VALU_DEP_1)
	v_mul_hi_u32 v2, v0, s9
	v_add_nc_u32_e32 v2, v0, v2
	s_delay_alu instid0(VALU_DEP_1) | instskip(NEXT) | instid1(VALU_DEP_1)
	v_lshrrev_b32_e32 v2, s10, v2
	v_mul_lo_u32 v3, v2, s11
	v_cmp_gt_u32_e64 s3, s4, v2
	v_cmp_gt_u32_e64 s4, s5, v1
	s_delay_alu instid0(VALU_DEP_3) | instskip(SKIP_1) | instid1(VALU_DEP_1)
	v_sub_nc_u32_e32 v0, v0, v3
	s_waitcnt lgkmcnt(0)
	v_mul_hi_u32 v3, v0, s12
	s_delay_alu instid0(VALU_DEP_1) | instskip(NEXT) | instid1(VALU_DEP_1)
	v_add_nc_u32_e32 v3, v0, v3
	v_lshrrev_b32_e32 v3, s13, v3
	s_delay_alu instid0(VALU_DEP_1) | instskip(SKIP_1) | instid1(VALU_DEP_2)
	v_mul_lo_u32 v4, v3, s14
	v_cmp_gt_u32_e64 s2, s2, v3
	v_sub_nc_u32_e32 v0, v0, v4
	s_delay_alu instid0(VALU_DEP_1) | instskip(NEXT) | instid1(VALU_DEP_3)
	v_cmp_gt_u32_e32 vcc_lo, s14, v0
	s_and_b32 s2, vcc_lo, s2
	s_delay_alu instid0(SALU_CYCLE_1) | instskip(NEXT) | instid1(SALU_CYCLE_1)
	s_and_b32 s2, s2, s3
	s_and_b32 s2, s4, s2
	s_delay_alu instid0(SALU_CYCLE_1)
	s_and_saveexec_b32 s3, s2
	s_cbranch_execz .LBB40_5
; %bb.1:
	s_clause 0x4
	s_load_b64 s[2:3], s[0:1], 0x0
	s_load_b128 s[20:23], s[0:1], 0xa8
	s_load_b256 s[4:11], s[0:1], 0x88
	s_load_b128 s[24:27], s[0:1], 0x78
	s_load_b256 s[12:19], s[0:1], 0x58
	s_waitcnt lgkmcnt(0)
	s_cmp_eq_u64 s[2:3], 0
	s_cbranch_scc1 .LBB40_3
; %bb.2:
	v_mul_lo_u32 v4, v1, s10
	v_mul_lo_u32 v6, v2, s9
	;; [unrolled: 1-line block ×3, first 2 shown]
	v_mov_b32_e32 v5, 0
	s_delay_alu instid0(VALU_DEP_2) | instskip(NEXT) | instid1(VALU_DEP_1)
	v_add3_u32 v4, v6, v4, v7
	v_lshlrev_b64 v[6:7], 2, v[4:5]
	v_mul_lo_u32 v4, v0, s7
	s_delay_alu instid0(VALU_DEP_2) | instskip(NEXT) | instid1(VALU_DEP_3)
	v_add_co_u32 v6, vcc_lo, s2, v6
	v_add_co_ci_u32_e32 v7, vcc_lo, s3, v7, vcc_lo
	s_delay_alu instid0(VALU_DEP_3) | instskip(NEXT) | instid1(VALU_DEP_1)
	v_lshlrev_b64 v[4:5], 2, v[4:5]
	v_add_co_u32 v4, vcc_lo, v6, v4
	s_delay_alu instid0(VALU_DEP_2)
	v_add_co_ci_u32_e32 v5, vcc_lo, v7, v5, vcc_lo
	global_load_b32 v4, v[4:5], off
	s_branch .LBB40_4
.LBB40_3:
	v_mov_b32_e32 v4, 0
.LBB40_4:
	v_mul_hi_u32 v5, s25, v1
	v_mul_hi_u32 v6, s18, v2
	;; [unrolled: 1-line block ×4, first 2 shown]
	s_delay_alu instid0(VALU_DEP_4) | instskip(NEXT) | instid1(VALU_DEP_4)
	v_add_nc_u32_e32 v5, v1, v5
	v_add_nc_u32_e32 v6, v2, v6
	s_delay_alu instid0(VALU_DEP_4) | instskip(NEXT) | instid1(VALU_DEP_4)
	v_add_nc_u32_e32 v7, v3, v7
	v_add_nc_u32_e32 v8, v0, v8
	s_delay_alu instid0(VALU_DEP_4) | instskip(NEXT) | instid1(VALU_DEP_4)
	v_lshrrev_b32_e32 v5, s26, v5
	v_lshrrev_b32_e32 v6, s19, v6
	s_delay_alu instid0(VALU_DEP_4) | instskip(NEXT) | instid1(VALU_DEP_4)
	v_lshrrev_b32_e32 v7, s16, v7
	v_lshrrev_b32_e32 v8, s13, v8
	s_delay_alu instid0(VALU_DEP_4) | instskip(NEXT) | instid1(VALU_DEP_4)
	v_mul_lo_u32 v5, v5, s27
	v_mul_lo_u32 v6, v6, s24
	s_delay_alu instid0(VALU_DEP_4) | instskip(NEXT) | instid1(VALU_DEP_4)
	v_mul_lo_u32 v7, v7, s17
	v_mul_lo_u32 v8, v8, s14
	s_delay_alu instid0(VALU_DEP_4) | instskip(NEXT) | instid1(VALU_DEP_4)
	v_sub_nc_u32_e32 v5, v1, v5
	v_sub_nc_u32_e32 v6, v2, v6
	s_delay_alu instid0(VALU_DEP_4) | instskip(NEXT) | instid1(VALU_DEP_4)
	v_sub_nc_u32_e32 v7, v3, v7
	v_sub_nc_u32_e32 v8, v0, v8
	v_mul_lo_u32 v1, v1, s6
	v_mul_lo_u32 v5, v5, s22
	;; [unrolled: 1-line block ×5, first 2 shown]
	s_clause 0x1
	s_load_b128 s[8:11], s[0:1], 0xb8
	s_load_b64 s[0:1], s[0:1], 0x10
	v_mul_lo_u32 v2, v2, s5
	s_delay_alu instid0(VALU_DEP_3) | instskip(NEXT) | instid1(VALU_DEP_3)
	v_add3_u32 v5, v6, v5, v7
	v_ashrrev_i32_e32 v6, 31, v8
	s_delay_alu instid0(VALU_DEP_2) | instskip(SKIP_1) | instid1(VALU_DEP_2)
	v_ashrrev_i32_e32 v7, 31, v5
	v_add_co_u32 v5, vcc_lo, v8, v5
	v_add_co_ci_u32_e32 v6, vcc_lo, v6, v7, vcc_lo
	s_delay_alu instid0(VALU_DEP_1) | instskip(SKIP_1) | instid1(VALU_DEP_1)
	v_lshlrev_b64 v[5:6], 2, v[5:6]
	s_waitcnt lgkmcnt(0)
	v_add_co_u32 v7, vcc_lo, s8, v5
	s_delay_alu instid0(VALU_DEP_2)
	v_add_co_ci_u32_e32 v8, vcc_lo, s9, v6, vcc_lo
	v_add_co_u32 v5, vcc_lo, s10, v5
	v_add_co_ci_u32_e32 v6, vcc_lo, s11, v6, vcc_lo
	global_load_b32 v7, v[7:8], off
	global_load_b32 v5, v[5:6], off
	v_mul_lo_u32 v6, v3, s4
	v_mov_b32_e32 v3, 0
	s_delay_alu instid0(VALU_DEP_2) | instskip(NEXT) | instid1(VALU_DEP_2)
	v_add3_u32 v2, v2, v1, v6
	v_mov_b32_e32 v1, v3
	s_delay_alu instid0(VALU_DEP_2) | instskip(NEXT) | instid1(VALU_DEP_2)
	v_lshlrev_b64 v[2:3], 2, v[2:3]
	v_lshlrev_b64 v[0:1], 2, v[0:1]
	s_delay_alu instid0(VALU_DEP_2) | instskip(NEXT) | instid1(VALU_DEP_3)
	v_add_co_u32 v2, vcc_lo, s0, v2
	v_add_co_ci_u32_e32 v3, vcc_lo, s1, v3, vcc_lo
	s_delay_alu instid0(VALU_DEP_2) | instskip(NEXT) | instid1(VALU_DEP_2)
	v_add_co_u32 v0, vcc_lo, v2, v0
	v_add_co_ci_u32_e32 v1, vcc_lo, v3, v1, vcc_lo
	s_waitcnt vmcnt(1)
	v_add_f32_e32 v4, v4, v7
	s_waitcnt vmcnt(0)
	s_delay_alu instid0(VALU_DEP_1)
	v_add_f32_e32 v4, v4, v5
	global_store_b32 v[0:1], v4, off
.LBB40_5:
	s_nop 0
	s_sendmsg sendmsg(MSG_DEALLOC_VGPRS)
	s_endpgm
	.section	.rodata,"a",@progbits
	.p2align	6, 0x0
	.amdhsa_kernel _ZL19k_bin_bcast_unravelIXadL_ZL6op_addffEEfffJPKfS1_EEvPKT0_PKT1_PT2_15HIP_vector_typeIjLj3EESB_SB_jSB_SB_SB_SB_SB_SB_iiiiiiiiiiiDpT3_
		.amdhsa_group_segment_fixed_size 0
		.amdhsa_private_segment_fixed_size 0
		.amdhsa_kernarg_size 456
		.amdhsa_user_sgpr_count 15
		.amdhsa_user_sgpr_dispatch_ptr 0
		.amdhsa_user_sgpr_queue_ptr 0
		.amdhsa_user_sgpr_kernarg_segment_ptr 1
		.amdhsa_user_sgpr_dispatch_id 0
		.amdhsa_user_sgpr_private_segment_size 0
		.amdhsa_wavefront_size32 1
		.amdhsa_uses_dynamic_stack 0
		.amdhsa_enable_private_segment 0
		.amdhsa_system_sgpr_workgroup_id_x 1
		.amdhsa_system_sgpr_workgroup_id_y 0
		.amdhsa_system_sgpr_workgroup_id_z 0
		.amdhsa_system_sgpr_workgroup_info 0
		.amdhsa_system_vgpr_workitem_id 0
		.amdhsa_next_free_vgpr 9
		.amdhsa_next_free_sgpr 28
		.amdhsa_reserve_vcc 1
		.amdhsa_float_round_mode_32 0
		.amdhsa_float_round_mode_16_64 0
		.amdhsa_float_denorm_mode_32 3
		.amdhsa_float_denorm_mode_16_64 3
		.amdhsa_dx10_clamp 1
		.amdhsa_ieee_mode 1
		.amdhsa_fp16_overflow 0
		.amdhsa_workgroup_processor_mode 1
		.amdhsa_memory_ordered 1
		.amdhsa_forward_progress 0
		.amdhsa_shared_vgpr_count 0
		.amdhsa_exception_fp_ieee_invalid_op 0
		.amdhsa_exception_fp_denorm_src 0
		.amdhsa_exception_fp_ieee_div_zero 0
		.amdhsa_exception_fp_ieee_overflow 0
		.amdhsa_exception_fp_ieee_underflow 0
		.amdhsa_exception_fp_ieee_inexact 0
		.amdhsa_exception_int_div_zero 0
	.end_amdhsa_kernel
	.section	.text._ZL19k_bin_bcast_unravelIXadL_ZL6op_addffEEfffJPKfS1_EEvPKT0_PKT1_PT2_15HIP_vector_typeIjLj3EESB_SB_jSB_SB_SB_SB_SB_SB_iiiiiiiiiiiDpT3_,"axG",@progbits,_ZL19k_bin_bcast_unravelIXadL_ZL6op_addffEEfffJPKfS1_EEvPKT0_PKT1_PT2_15HIP_vector_typeIjLj3EESB_SB_jSB_SB_SB_SB_SB_SB_iiiiiiiiiiiDpT3_,comdat
.Lfunc_end40:
	.size	_ZL19k_bin_bcast_unravelIXadL_ZL6op_addffEEfffJPKfS1_EEvPKT0_PKT1_PT2_15HIP_vector_typeIjLj3EESB_SB_jSB_SB_SB_SB_SB_SB_iiiiiiiiiiiDpT3_, .Lfunc_end40-_ZL19k_bin_bcast_unravelIXadL_ZL6op_addffEEfffJPKfS1_EEvPKT0_PKT1_PT2_15HIP_vector_typeIjLj3EESB_SB_jSB_SB_SB_SB_SB_SB_iiiiiiiiiiiDpT3_
                                        ; -- End function
	.section	.AMDGPU.csdata,"",@progbits
; Kernel info:
; codeLenInByte = 840
; NumSgprs: 30
; NumVgprs: 9
; ScratchSize: 0
; MemoryBound: 0
; FloatMode: 240
; IeeeMode: 1
; LDSByteSize: 0 bytes/workgroup (compile time only)
; SGPRBlocks: 3
; VGPRBlocks: 1
; NumSGPRsForWavesPerEU: 30
; NumVGPRsForWavesPerEU: 9
; Occupancy: 16
; WaveLimiterHint : 1
; COMPUTE_PGM_RSRC2:SCRATCH_EN: 0
; COMPUTE_PGM_RSRC2:USER_SGPR: 15
; COMPUTE_PGM_RSRC2:TRAP_HANDLER: 0
; COMPUTE_PGM_RSRC2:TGID_X_EN: 1
; COMPUTE_PGM_RSRC2:TGID_Y_EN: 0
; COMPUTE_PGM_RSRC2:TGID_Z_EN: 0
; COMPUTE_PGM_RSRC2:TIDIG_COMP_CNT: 0
	.section	.text._ZL11k_bin_bcastIXadL_ZL6op_addffEEfffJPKfS1_EEvPKT0_PKT1_PT2_iii15HIP_vector_typeIjLj3EESB_SB_SB_SB_iiiiiiiiiiiDpT3_,"axG",@progbits,_ZL11k_bin_bcastIXadL_ZL6op_addffEEfffJPKfS1_EEvPKT0_PKT1_PT2_iii15HIP_vector_typeIjLj3EESB_SB_SB_SB_iiiiiiiiiiiDpT3_,comdat
	.globl	_ZL11k_bin_bcastIXadL_ZL6op_addffEEfffJPKfS1_EEvPKT0_PKT1_PT2_iii15HIP_vector_typeIjLj3EESB_SB_SB_SB_iiiiiiiiiiiDpT3_ ; -- Begin function _ZL11k_bin_bcastIXadL_ZL6op_addffEEfffJPKfS1_EEvPKT0_PKT1_PT2_iii15HIP_vector_typeIjLj3EESB_SB_SB_SB_iiiiiiiiiiiDpT3_
	.p2align	8
	.type	_ZL11k_bin_bcastIXadL_ZL6op_addffEEfffJPKfS1_EEvPKT0_PKT1_PT2_iii15HIP_vector_typeIjLj3EESB_SB_SB_SB_iiiiiiiiiiiDpT3_,@function
_ZL11k_bin_bcastIXadL_ZL6op_addffEEfffJPKfS1_EEvPKT0_PKT1_PT2_iii15HIP_vector_typeIjLj3EESB_SB_SB_SB_iiiiiiiiiiiDpT3_: ; @_ZL11k_bin_bcastIXadL_ZL6op_addffEEfffJPKfS1_EEvPKT0_PKT1_PT2_iii15HIP_vector_typeIjLj3EESB_SB_SB_SB_iiiiiiiiiiiDpT3_
; %bb.0:
	s_clause 0x1
	s_load_b64 s[2:3], s[0:1], 0xac
	s_load_b256 s[16:23], s[0:1], 0x18
	v_bfe_u32 v1, v0, 20, 10
	s_add_u32 s34, s0, 0xa0
	s_addc_u32 s35, s1, 0
	s_waitcnt lgkmcnt(0)
	s_and_b32 s3, s3, 0xffff
	s_and_b32 s12, s2, 0xffff
	v_mad_u64_u32 v[4:5], null, s15, s3, v[1:2]
	v_and_b32_e32 v2, 0x3ff, v0
	v_bfe_u32 v5, v0, 10, 10
	s_lshr_b32 s3, s2, 16
	s_delay_alu instid0(VALU_DEP_3) | instskip(NEXT) | instid1(VALU_DEP_1)
	v_mul_hi_u32 v1, v4, s19
	v_add_nc_u32_e32 v1, v4, v1
	s_delay_alu instid0(VALU_DEP_1) | instskip(NEXT) | instid1(VALU_DEP_1)
	v_lshrrev_b32_e32 v3, s20, v1
	v_mul_lo_u32 v6, v3, s21
	v_mad_u64_u32 v[0:1], null, s13, s12, v[2:3]
	s_delay_alu instid0(VALU_DEP_2) | instskip(SKIP_1) | instid1(VALU_DEP_3)
	v_mad_u64_u32 v[1:2], null, s14, s3, v[5:6]
	v_sub_nc_u32_e32 v4, v4, v6
	v_cmp_gt_u32_e32 vcc_lo, s16, v0
	v_cmp_gt_u32_e64 s3, s18, v3
	s_delay_alu instid0(VALU_DEP_3) | instskip(SKIP_1) | instid1(VALU_DEP_1)
	v_cmp_gt_u32_e64 s4, s21, v4
	v_cmp_gt_u32_e64 s2, s17, v1
	s_and_b32 s2, vcc_lo, s2
	s_delay_alu instid0(VALU_DEP_3) | instid1(SALU_CYCLE_1)
	s_and_b32 s2, s2, s3
	s_delay_alu instid0(VALU_DEP_2) | instid1(SALU_CYCLE_1)
	s_and_b32 s2, s2, s4
	s_delay_alu instid0(SALU_CYCLE_1)
	s_and_saveexec_b32 s3, s2
	s_cbranch_execz .LBB41_6
; %bb.1:
	v_cmp_gt_i32_e32 vcc_lo, s16, v0
	s_and_b32 exec_lo, exec_lo, vcc_lo
	s_cbranch_execz .LBB41_6
; %bb.2:
	s_clause 0x4
	s_load_b256 s[36:43], s[0:1], 0x3c
	s_load_b256 s[4:11], s[0:1], 0x60
	;; [unrolled: 1-line block ×3, first 2 shown]
	s_load_b32 s13, s[0:1], 0x5c
	s_load_b64 s[2:3], s[0:1], 0x0
	s_waitcnt lgkmcnt(0)
	v_mul_hi_u32 v2, s36, v1
	v_mul_hi_u32 v5, s39, v3
	;; [unrolled: 1-line block ×3, first 2 shown]
	v_mul_lo_u32 v9, v4, s10
	v_mul_lo_u32 v10, v3, s9
	;; [unrolled: 1-line block ×3, first 2 shown]
	v_mov_b32_e32 v6, 0
	v_mul_lo_u32 v13, v3, s5
	v_add_nc_u32_e32 v2, v1, v2
	v_add_nc_u32_e32 v5, v3, v5
	s_delay_alu instid0(VALU_DEP_4)
	v_dual_mov_b32 v8, v6 :: v_dual_add_nc_u32 v7, v4, v7
	s_clause 0x1
	s_load_b32 s5, s[0:1], 0x38
	s_load_b64 s[0:1], s[0:1], 0x10
	v_lshrrev_b32_e32 v2, s37, v2
	v_lshrrev_b32_e32 v15, s40, v5
	;; [unrolled: 1-line block ×3, first 2 shown]
	v_add3_u32 v5, v10, v11, v9
	v_mul_lo_u32 v12, v4, s6
	v_mul_lo_u32 v14, v1, s4
	;; [unrolled: 1-line block ×5, first 2 shown]
	s_load_b32 s4, s[34:35], 0x0
	v_lshlrev_b64 v[5:6], 2, v[5:6]
	s_cmp_lg_u64 s[2:3], 0
	v_mul_lo_u32 v2, s7, v0
	v_add3_u32 v7, v13, v14, v12
	v_sub_nc_u32_e32 v1, v1, v9
	v_sub_nc_u32_e32 v3, v3, v10
	;; [unrolled: 1-line block ×3, first 2 shown]
	v_add_co_u32 v9, vcc_lo, s2, v5
	v_add_co_ci_u32_e32 v5, vcc_lo, s3, v6, vcc_lo
	v_lshlrev_b64 v[7:8], 2, v[7:8]
	s_delay_alu instid0(VALU_DEP_4)
	v_mul_lo_u32 v10, v4, s26
	v_mul_lo_u32 v3, v3, s25
	;; [unrolled: 1-line block ×3, first 2 shown]
	s_cselect_b32 vcc_lo, -1, 0
	s_mov_b32 s3, 0
	v_cndmask_b32_e32 v5, 0, v5, vcc_lo
	v_cndmask_b32_e32 v4, 0, v9, vcc_lo
	s_waitcnt lgkmcnt(0)
	v_add_co_u32 v6, vcc_lo, s0, v7
	v_add_co_ci_u32_e32 v7, vcc_lo, s1, v8, vcc_lo
	s_delay_alu instid0(VALU_DEP_3)
	v_cmp_ne_u64_e32 vcc_lo, 0, v[4:5]
	v_add3_u32 v8, v3, v10, v1
	s_mul_i32 s2, s4, s12
	s_sub_i32 s5, 0, s5
	s_mul_i32 s4, s2, s7
	s_branch .LBB41_4
.LBB41_3:                               ;   in Loop: Header=BB41_4 Depth=1
	s_or_b32 exec_lo, exec_lo, s1
	v_mul_hi_u32 v1, s22, v0
	v_add_nc_u32_e32 v2, s4, v2
	s_delay_alu instid0(VALU_DEP_2) | instskip(NEXT) | instid1(VALU_DEP_1)
	v_add_nc_u32_e32 v1, v0, v1
	v_lshrrev_b32_e32 v1, s23, v1
	s_delay_alu instid0(VALU_DEP_1) | instskip(NEXT) | instid1(VALU_DEP_1)
	v_mad_u64_u32 v[9:10], null, s5, v1, v[0:1]
	v_mul_lo_u32 v1, v9, s11
	s_delay_alu instid0(VALU_DEP_1) | instskip(NEXT) | instid1(VALU_DEP_1)
	v_add_co_u32 v9, s0, v1, v8
	v_add_co_ci_u32_e64 v10, null, 0, 0, s0
	v_ashrrev_i32_e32 v1, 31, v0
	s_delay_alu instid0(VALU_DEP_2) | instskip(NEXT) | instid1(VALU_DEP_1)
	v_lshlrev_b64 v[9:10], 2, v[9:10]
	v_add_co_u32 v11, s0, s28, v9
	s_delay_alu instid0(VALU_DEP_1) | instskip(SKIP_1) | instid1(VALU_DEP_1)
	v_add_co_ci_u32_e64 v12, s0, s29, v10, s0
	v_add_co_u32 v9, s0, s30, v9
	v_add_co_ci_u32_e64 v10, s0, s31, v10, s0
	global_load_b32 v11, v[11:12], off
	global_load_b32 v12, v[9:10], off
	v_lshlrev_b64 v[9:10], 2, v[0:1]
	v_add_nc_u32_e32 v0, s2, v0
	s_delay_alu instid0(VALU_DEP_2) | instskip(NEXT) | instid1(VALU_DEP_1)
	v_add_co_u32 v9, s1, v6, v9
	v_add_co_ci_u32_e64 v10, s1, v7, v10, s1
	s_waitcnt vmcnt(1)
	v_add_f32_e32 v1, v3, v11
	v_cmp_le_i32_e64 s0, s16, v0
	s_waitcnt vmcnt(0)
	s_delay_alu instid0(VALU_DEP_2) | instskip(NEXT) | instid1(VALU_DEP_2)
	v_add_f32_e32 v1, v1, v12
	s_or_b32 s3, s0, s3
	global_store_b32 v[9:10], v1, off
	s_and_not1_b32 exec_lo, exec_lo, s3
	s_cbranch_execz .LBB41_6
.LBB41_4:                               ; =>This Inner Loop Header: Depth=1
	v_mov_b32_e32 v3, 0
	s_and_saveexec_b32 s1, vcc_lo
	s_cbranch_execz .LBB41_3
; %bb.5:                                ;   in Loop: Header=BB41_4 Depth=1
	v_ashrrev_i32_e32 v3, 31, v2
	s_delay_alu instid0(VALU_DEP_1) | instskip(NEXT) | instid1(VALU_DEP_1)
	v_lshlrev_b64 v[9:10], 2, v[2:3]
	v_add_co_u32 v9, s0, v4, v9
	s_delay_alu instid0(VALU_DEP_1)
	v_add_co_ci_u32_e64 v10, s0, v5, v10, s0
	global_load_b32 v3, v[9:10], off
	s_branch .LBB41_3
.LBB41_6:
	s_nop 0
	s_sendmsg sendmsg(MSG_DEALLOC_VGPRS)
	s_endpgm
	.section	.rodata,"a",@progbits
	.p2align	6, 0x0
	.amdhsa_kernel _ZL11k_bin_bcastIXadL_ZL6op_addffEEfffJPKfS1_EEvPKT0_PKT1_PT2_iii15HIP_vector_typeIjLj3EESB_SB_SB_SB_iiiiiiiiiiiDpT3_
		.amdhsa_group_segment_fixed_size 0
		.amdhsa_private_segment_fixed_size 0
		.amdhsa_kernarg_size 416
		.amdhsa_user_sgpr_count 13
		.amdhsa_user_sgpr_dispatch_ptr 0
		.amdhsa_user_sgpr_queue_ptr 0
		.amdhsa_user_sgpr_kernarg_segment_ptr 1
		.amdhsa_user_sgpr_dispatch_id 0
		.amdhsa_user_sgpr_private_segment_size 0
		.amdhsa_wavefront_size32 1
		.amdhsa_uses_dynamic_stack 0
		.amdhsa_enable_private_segment 0
		.amdhsa_system_sgpr_workgroup_id_x 1
		.amdhsa_system_sgpr_workgroup_id_y 1
		.amdhsa_system_sgpr_workgroup_id_z 1
		.amdhsa_system_sgpr_workgroup_info 0
		.amdhsa_system_vgpr_workitem_id 2
		.amdhsa_next_free_vgpr 17
		.amdhsa_next_free_sgpr 44
		.amdhsa_reserve_vcc 1
		.amdhsa_float_round_mode_32 0
		.amdhsa_float_round_mode_16_64 0
		.amdhsa_float_denorm_mode_32 3
		.amdhsa_float_denorm_mode_16_64 3
		.amdhsa_dx10_clamp 1
		.amdhsa_ieee_mode 1
		.amdhsa_fp16_overflow 0
		.amdhsa_workgroup_processor_mode 1
		.amdhsa_memory_ordered 1
		.amdhsa_forward_progress 0
		.amdhsa_shared_vgpr_count 0
		.amdhsa_exception_fp_ieee_invalid_op 0
		.amdhsa_exception_fp_denorm_src 0
		.amdhsa_exception_fp_ieee_div_zero 0
		.amdhsa_exception_fp_ieee_overflow 0
		.amdhsa_exception_fp_ieee_underflow 0
		.amdhsa_exception_fp_ieee_inexact 0
		.amdhsa_exception_int_div_zero 0
	.end_amdhsa_kernel
	.section	.text._ZL11k_bin_bcastIXadL_ZL6op_addffEEfffJPKfS1_EEvPKT0_PKT1_PT2_iii15HIP_vector_typeIjLj3EESB_SB_SB_SB_iiiiiiiiiiiDpT3_,"axG",@progbits,_ZL11k_bin_bcastIXadL_ZL6op_addffEEfffJPKfS1_EEvPKT0_PKT1_PT2_iii15HIP_vector_typeIjLj3EESB_SB_SB_SB_iiiiiiiiiiiDpT3_,comdat
.Lfunc_end41:
	.size	_ZL11k_bin_bcastIXadL_ZL6op_addffEEfffJPKfS1_EEvPKT0_PKT1_PT2_iii15HIP_vector_typeIjLj3EESB_SB_SB_SB_iiiiiiiiiiiDpT3_, .Lfunc_end41-_ZL11k_bin_bcastIXadL_ZL6op_addffEEfffJPKfS1_EEvPKT0_PKT1_PT2_iii15HIP_vector_typeIjLj3EESB_SB_SB_SB_iiiiiiiiiiiDpT3_
                                        ; -- End function
	.section	.AMDGPU.csdata,"",@progbits
; Kernel info:
; codeLenInByte = 876
; NumSgprs: 46
; NumVgprs: 17
; ScratchSize: 0
; MemoryBound: 0
; FloatMode: 240
; IeeeMode: 1
; LDSByteSize: 0 bytes/workgroup (compile time only)
; SGPRBlocks: 5
; VGPRBlocks: 2
; NumSGPRsForWavesPerEU: 46
; NumVGPRsForWavesPerEU: 17
; Occupancy: 16
; WaveLimiterHint : 1
; COMPUTE_PGM_RSRC2:SCRATCH_EN: 0
; COMPUTE_PGM_RSRC2:USER_SGPR: 13
; COMPUTE_PGM_RSRC2:TRAP_HANDLER: 0
; COMPUTE_PGM_RSRC2:TGID_X_EN: 1
; COMPUTE_PGM_RSRC2:TGID_Y_EN: 1
; COMPUTE_PGM_RSRC2:TGID_Z_EN: 1
; COMPUTE_PGM_RSRC2:TIDIG_COMP_CNT: 2
	.section	.text._ZL19k_bin_bcast_unravelIXadL_ZL6op_addffEE6__halfS0_S0_JPKS0_S2_EEvPKT0_PKT1_PT2_15HIP_vector_typeIjLj3EESC_SC_jSC_SC_SC_SC_SC_SC_iiiiiiiiiiiDpT3_,"axG",@progbits,_ZL19k_bin_bcast_unravelIXadL_ZL6op_addffEE6__halfS0_S0_JPKS0_S2_EEvPKT0_PKT1_PT2_15HIP_vector_typeIjLj3EESC_SC_jSC_SC_SC_SC_SC_SC_iiiiiiiiiiiDpT3_,comdat
	.globl	_ZL19k_bin_bcast_unravelIXadL_ZL6op_addffEE6__halfS0_S0_JPKS0_S2_EEvPKT0_PKT1_PT2_15HIP_vector_typeIjLj3EESC_SC_jSC_SC_SC_SC_SC_SC_iiiiiiiiiiiDpT3_ ; -- Begin function _ZL19k_bin_bcast_unravelIXadL_ZL6op_addffEE6__halfS0_S0_JPKS0_S2_EEvPKT0_PKT1_PT2_15HIP_vector_typeIjLj3EESC_SC_jSC_SC_SC_SC_SC_SC_iiiiiiiiiiiDpT3_
	.p2align	8
	.type	_ZL19k_bin_bcast_unravelIXadL_ZL6op_addffEE6__halfS0_S0_JPKS0_S2_EEvPKT0_PKT1_PT2_15HIP_vector_typeIjLj3EESC_SC_jSC_SC_SC_SC_SC_SC_iiiiiiiiiiiDpT3_,@function
_ZL19k_bin_bcast_unravelIXadL_ZL6op_addffEE6__halfS0_S0_JPKS0_S2_EEvPKT0_PKT1_PT2_15HIP_vector_typeIjLj3EESC_SC_jSC_SC_SC_SC_SC_SC_iiiiiiiiiiiDpT3_: ; @_ZL19k_bin_bcast_unravelIXadL_ZL6op_addffEE6__halfS0_S0_JPKS0_S2_EEvPKT0_PKT1_PT2_15HIP_vector_typeIjLj3EESC_SC_jSC_SC_SC_SC_SC_SC_iiiiiiiiiiiDpT3_
; %bb.0:
	s_clause 0x1
	s_load_b32 s2, s[0:1], 0xd4
	s_load_b256 s[4:11], s[0:1], 0x38
	s_waitcnt lgkmcnt(0)
	s_and_b32 s2, s2, 0xffff
	s_delay_alu instid0(SALU_CYCLE_1) | instskip(SKIP_3) | instid1(VALU_DEP_1)
	v_mad_u64_u32 v[2:3], null, s15, s2, v[0:1]
	s_clause 0x1
	s_load_b128 s[12:15], s[0:1], 0x18
	s_load_b32 s2, s[0:1], 0x2c
	v_mul_hi_u32 v0, v2, s6
	s_delay_alu instid0(VALU_DEP_1) | instskip(NEXT) | instid1(VALU_DEP_1)
	v_add_nc_u32_e32 v0, v2, v0
	v_lshrrev_b32_e32 v1, s7, v0
	s_delay_alu instid0(VALU_DEP_1) | instskip(NEXT) | instid1(VALU_DEP_1)
	v_mul_lo_u32 v0, v1, s8
	v_sub_nc_u32_e32 v0, v2, v0
	s_delay_alu instid0(VALU_DEP_1) | instskip(NEXT) | instid1(VALU_DEP_1)
	v_mul_hi_u32 v2, v0, s9
	v_add_nc_u32_e32 v2, v0, v2
	s_delay_alu instid0(VALU_DEP_1) | instskip(NEXT) | instid1(VALU_DEP_1)
	v_lshrrev_b32_e32 v2, s10, v2
	v_mul_lo_u32 v3, v2, s11
	v_cmp_gt_u32_e64 s3, s4, v2
	v_cmp_gt_u32_e64 s4, s5, v1
	s_delay_alu instid0(VALU_DEP_3) | instskip(SKIP_1) | instid1(VALU_DEP_1)
	v_sub_nc_u32_e32 v0, v0, v3
	s_waitcnt lgkmcnt(0)
	v_mul_hi_u32 v3, v0, s12
	s_delay_alu instid0(VALU_DEP_1) | instskip(NEXT) | instid1(VALU_DEP_1)
	v_add_nc_u32_e32 v3, v0, v3
	v_lshrrev_b32_e32 v3, s13, v3
	s_delay_alu instid0(VALU_DEP_1) | instskip(SKIP_1) | instid1(VALU_DEP_2)
	v_mul_lo_u32 v4, v3, s14
	v_cmp_gt_u32_e64 s2, s2, v3
	v_sub_nc_u32_e32 v0, v0, v4
	s_delay_alu instid0(VALU_DEP_1) | instskip(NEXT) | instid1(VALU_DEP_3)
	v_cmp_gt_u32_e32 vcc_lo, s14, v0
	s_and_b32 s2, vcc_lo, s2
	s_delay_alu instid0(SALU_CYCLE_1) | instskip(NEXT) | instid1(SALU_CYCLE_1)
	s_and_b32 s2, s2, s3
	s_and_b32 s2, s4, s2
	s_delay_alu instid0(SALU_CYCLE_1)
	s_and_saveexec_b32 s3, s2
	s_cbranch_execz .LBB42_5
; %bb.1:
	s_clause 0x4
	s_load_b64 s[2:3], s[0:1], 0x0
	s_load_b128 s[20:23], s[0:1], 0xa8
	s_load_b256 s[4:11], s[0:1], 0x88
	s_load_b128 s[24:27], s[0:1], 0x78
	s_load_b256 s[12:19], s[0:1], 0x58
	s_waitcnt lgkmcnt(0)
	s_cmp_eq_u64 s[2:3], 0
	s_cbranch_scc1 .LBB42_3
; %bb.2:
	v_mul_lo_u32 v4, v1, s10
	v_mul_lo_u32 v6, v2, s9
	;; [unrolled: 1-line block ×3, first 2 shown]
	v_mov_b32_e32 v5, 0
	s_delay_alu instid0(VALU_DEP_2) | instskip(NEXT) | instid1(VALU_DEP_1)
	v_add3_u32 v4, v6, v4, v7
	v_lshlrev_b64 v[6:7], 1, v[4:5]
	v_mul_lo_u32 v4, v0, s7
	s_delay_alu instid0(VALU_DEP_2) | instskip(NEXT) | instid1(VALU_DEP_3)
	v_add_co_u32 v6, vcc_lo, s2, v6
	v_add_co_ci_u32_e32 v7, vcc_lo, s3, v7, vcc_lo
	s_delay_alu instid0(VALU_DEP_3) | instskip(NEXT) | instid1(VALU_DEP_1)
	v_lshlrev_b64 v[4:5], 1, v[4:5]
	v_add_co_u32 v4, vcc_lo, v6, v4
	s_delay_alu instid0(VALU_DEP_2)
	v_add_co_ci_u32_e32 v5, vcc_lo, v7, v5, vcc_lo
	global_load_u16 v4, v[4:5], off
	s_waitcnt vmcnt(0)
	v_cvt_f32_f16_e32 v4, v4
	s_branch .LBB42_4
.LBB42_3:
	v_mov_b32_e32 v4, 0
.LBB42_4:
	v_mul_hi_u32 v5, s25, v1
	v_mul_hi_u32 v6, s18, v2
	;; [unrolled: 1-line block ×4, first 2 shown]
	s_delay_alu instid0(VALU_DEP_4) | instskip(NEXT) | instid1(VALU_DEP_4)
	v_add_nc_u32_e32 v5, v1, v5
	v_add_nc_u32_e32 v6, v2, v6
	s_delay_alu instid0(VALU_DEP_4) | instskip(NEXT) | instid1(VALU_DEP_4)
	v_add_nc_u32_e32 v7, v3, v7
	v_add_nc_u32_e32 v8, v0, v8
	s_delay_alu instid0(VALU_DEP_4) | instskip(NEXT) | instid1(VALU_DEP_4)
	v_lshrrev_b32_e32 v5, s26, v5
	v_lshrrev_b32_e32 v6, s19, v6
	s_delay_alu instid0(VALU_DEP_4) | instskip(NEXT) | instid1(VALU_DEP_4)
	v_lshrrev_b32_e32 v7, s16, v7
	v_lshrrev_b32_e32 v8, s13, v8
	s_delay_alu instid0(VALU_DEP_4) | instskip(NEXT) | instid1(VALU_DEP_4)
	v_mul_lo_u32 v5, v5, s27
	v_mul_lo_u32 v6, v6, s24
	s_delay_alu instid0(VALU_DEP_4) | instskip(NEXT) | instid1(VALU_DEP_4)
	v_mul_lo_u32 v7, v7, s17
	v_mul_lo_u32 v8, v8, s14
	s_delay_alu instid0(VALU_DEP_4) | instskip(NEXT) | instid1(VALU_DEP_4)
	v_sub_nc_u32_e32 v5, v1, v5
	v_sub_nc_u32_e32 v6, v2, v6
	s_delay_alu instid0(VALU_DEP_4) | instskip(NEXT) | instid1(VALU_DEP_4)
	v_sub_nc_u32_e32 v7, v3, v7
	v_sub_nc_u32_e32 v8, v0, v8
	v_mul_lo_u32 v1, v1, s6
	v_mul_lo_u32 v5, v5, s22
	;; [unrolled: 1-line block ×5, first 2 shown]
	s_clause 0x1
	s_load_b128 s[8:11], s[0:1], 0xb8
	s_load_b64 s[0:1], s[0:1], 0x10
	v_mul_lo_u32 v2, v2, s5
	s_delay_alu instid0(VALU_DEP_3) | instskip(NEXT) | instid1(VALU_DEP_3)
	v_add3_u32 v5, v6, v5, v7
	v_ashrrev_i32_e32 v6, 31, v8
	s_delay_alu instid0(VALU_DEP_2) | instskip(SKIP_1) | instid1(VALU_DEP_2)
	v_ashrrev_i32_e32 v7, 31, v5
	v_add_co_u32 v5, vcc_lo, v8, v5
	v_add_co_ci_u32_e32 v6, vcc_lo, v6, v7, vcc_lo
	s_delay_alu instid0(VALU_DEP_1) | instskip(SKIP_1) | instid1(VALU_DEP_1)
	v_lshlrev_b64 v[5:6], 1, v[5:6]
	s_waitcnt lgkmcnt(0)
	v_add_co_u32 v7, vcc_lo, s8, v5
	s_delay_alu instid0(VALU_DEP_2)
	v_add_co_ci_u32_e32 v8, vcc_lo, s9, v6, vcc_lo
	v_add_co_u32 v5, vcc_lo, s10, v5
	v_add_co_ci_u32_e32 v6, vcc_lo, s11, v6, vcc_lo
	global_load_u16 v7, v[7:8], off
	global_load_u16 v5, v[5:6], off
	v_mul_lo_u32 v6, v3, s4
	v_mov_b32_e32 v3, 0
	s_delay_alu instid0(VALU_DEP_2) | instskip(NEXT) | instid1(VALU_DEP_2)
	v_add3_u32 v2, v2, v1, v6
	v_mov_b32_e32 v1, v3
	s_delay_alu instid0(VALU_DEP_2) | instskip(NEXT) | instid1(VALU_DEP_2)
	v_lshlrev_b64 v[2:3], 1, v[2:3]
	v_lshlrev_b64 v[0:1], 1, v[0:1]
	s_delay_alu instid0(VALU_DEP_2) | instskip(NEXT) | instid1(VALU_DEP_3)
	v_add_co_u32 v2, vcc_lo, s0, v2
	v_add_co_ci_u32_e32 v3, vcc_lo, s1, v3, vcc_lo
	s_delay_alu instid0(VALU_DEP_2) | instskip(NEXT) | instid1(VALU_DEP_2)
	v_add_co_u32 v0, vcc_lo, v2, v0
	v_add_co_ci_u32_e32 v1, vcc_lo, v3, v1, vcc_lo
	s_waitcnt vmcnt(1)
	v_cvt_f32_f16_e32 v7, v7
	s_waitcnt vmcnt(0)
	v_cvt_f32_f16_e32 v5, v5
	s_delay_alu instid0(VALU_DEP_2) | instskip(NEXT) | instid1(VALU_DEP_1)
	v_add_f32_e32 v4, v4, v7
	v_add_f32_e32 v4, v4, v5
	s_delay_alu instid0(VALU_DEP_1)
	v_cvt_f16_f32_e32 v4, v4
	global_store_b16 v[0:1], v4, off
.LBB42_5:
	s_nop 0
	s_sendmsg sendmsg(MSG_DEALLOC_VGPRS)
	s_endpgm
	.section	.rodata,"a",@progbits
	.p2align	6, 0x0
	.amdhsa_kernel _ZL19k_bin_bcast_unravelIXadL_ZL6op_addffEE6__halfS0_S0_JPKS0_S2_EEvPKT0_PKT1_PT2_15HIP_vector_typeIjLj3EESC_SC_jSC_SC_SC_SC_SC_SC_iiiiiiiiiiiDpT3_
		.amdhsa_group_segment_fixed_size 0
		.amdhsa_private_segment_fixed_size 0
		.amdhsa_kernarg_size 456
		.amdhsa_user_sgpr_count 15
		.amdhsa_user_sgpr_dispatch_ptr 0
		.amdhsa_user_sgpr_queue_ptr 0
		.amdhsa_user_sgpr_kernarg_segment_ptr 1
		.amdhsa_user_sgpr_dispatch_id 0
		.amdhsa_user_sgpr_private_segment_size 0
		.amdhsa_wavefront_size32 1
		.amdhsa_uses_dynamic_stack 0
		.amdhsa_enable_private_segment 0
		.amdhsa_system_sgpr_workgroup_id_x 1
		.amdhsa_system_sgpr_workgroup_id_y 0
		.amdhsa_system_sgpr_workgroup_id_z 0
		.amdhsa_system_sgpr_workgroup_info 0
		.amdhsa_system_vgpr_workitem_id 0
		.amdhsa_next_free_vgpr 9
		.amdhsa_next_free_sgpr 28
		.amdhsa_reserve_vcc 1
		.amdhsa_float_round_mode_32 0
		.amdhsa_float_round_mode_16_64 0
		.amdhsa_float_denorm_mode_32 3
		.amdhsa_float_denorm_mode_16_64 3
		.amdhsa_dx10_clamp 1
		.amdhsa_ieee_mode 1
		.amdhsa_fp16_overflow 0
		.amdhsa_workgroup_processor_mode 1
		.amdhsa_memory_ordered 1
		.amdhsa_forward_progress 0
		.amdhsa_shared_vgpr_count 0
		.amdhsa_exception_fp_ieee_invalid_op 0
		.amdhsa_exception_fp_denorm_src 0
		.amdhsa_exception_fp_ieee_div_zero 0
		.amdhsa_exception_fp_ieee_overflow 0
		.amdhsa_exception_fp_ieee_underflow 0
		.amdhsa_exception_fp_ieee_inexact 0
		.amdhsa_exception_int_div_zero 0
	.end_amdhsa_kernel
	.section	.text._ZL19k_bin_bcast_unravelIXadL_ZL6op_addffEE6__halfS0_S0_JPKS0_S2_EEvPKT0_PKT1_PT2_15HIP_vector_typeIjLj3EESC_SC_jSC_SC_SC_SC_SC_SC_iiiiiiiiiiiDpT3_,"axG",@progbits,_ZL19k_bin_bcast_unravelIXadL_ZL6op_addffEE6__halfS0_S0_JPKS0_S2_EEvPKT0_PKT1_PT2_15HIP_vector_typeIjLj3EESC_SC_jSC_SC_SC_SC_SC_SC_iiiiiiiiiiiDpT3_,comdat
.Lfunc_end42:
	.size	_ZL19k_bin_bcast_unravelIXadL_ZL6op_addffEE6__halfS0_S0_JPKS0_S2_EEvPKT0_PKT1_PT2_15HIP_vector_typeIjLj3EESC_SC_jSC_SC_SC_SC_SC_SC_iiiiiiiiiiiDpT3_, .Lfunc_end42-_ZL19k_bin_bcast_unravelIXadL_ZL6op_addffEE6__halfS0_S0_JPKS0_S2_EEvPKT0_PKT1_PT2_15HIP_vector_typeIjLj3EESC_SC_jSC_SC_SC_SC_SC_SC_iiiiiiiiiiiDpT3_
                                        ; -- End function
	.section	.AMDGPU.csdata,"",@progbits
; Kernel info:
; codeLenInByte = 864
; NumSgprs: 30
; NumVgprs: 9
; ScratchSize: 0
; MemoryBound: 0
; FloatMode: 240
; IeeeMode: 1
; LDSByteSize: 0 bytes/workgroup (compile time only)
; SGPRBlocks: 3
; VGPRBlocks: 1
; NumSGPRsForWavesPerEU: 30
; NumVGPRsForWavesPerEU: 9
; Occupancy: 16
; WaveLimiterHint : 1
; COMPUTE_PGM_RSRC2:SCRATCH_EN: 0
; COMPUTE_PGM_RSRC2:USER_SGPR: 15
; COMPUTE_PGM_RSRC2:TRAP_HANDLER: 0
; COMPUTE_PGM_RSRC2:TGID_X_EN: 1
; COMPUTE_PGM_RSRC2:TGID_Y_EN: 0
; COMPUTE_PGM_RSRC2:TGID_Z_EN: 0
; COMPUTE_PGM_RSRC2:TIDIG_COMP_CNT: 0
	.section	.text._ZL11k_bin_bcastIXadL_ZL6op_addffEE6__halfS0_S0_JPKS0_S2_EEvPKT0_PKT1_PT2_iii15HIP_vector_typeIjLj3EESC_SC_SC_SC_iiiiiiiiiiiDpT3_,"axG",@progbits,_ZL11k_bin_bcastIXadL_ZL6op_addffEE6__halfS0_S0_JPKS0_S2_EEvPKT0_PKT1_PT2_iii15HIP_vector_typeIjLj3EESC_SC_SC_SC_iiiiiiiiiiiDpT3_,comdat
	.globl	_ZL11k_bin_bcastIXadL_ZL6op_addffEE6__halfS0_S0_JPKS0_S2_EEvPKT0_PKT1_PT2_iii15HIP_vector_typeIjLj3EESC_SC_SC_SC_iiiiiiiiiiiDpT3_ ; -- Begin function _ZL11k_bin_bcastIXadL_ZL6op_addffEE6__halfS0_S0_JPKS0_S2_EEvPKT0_PKT1_PT2_iii15HIP_vector_typeIjLj3EESC_SC_SC_SC_iiiiiiiiiiiDpT3_
	.p2align	8
	.type	_ZL11k_bin_bcastIXadL_ZL6op_addffEE6__halfS0_S0_JPKS0_S2_EEvPKT0_PKT1_PT2_iii15HIP_vector_typeIjLj3EESC_SC_SC_SC_iiiiiiiiiiiDpT3_,@function
_ZL11k_bin_bcastIXadL_ZL6op_addffEE6__halfS0_S0_JPKS0_S2_EEvPKT0_PKT1_PT2_iii15HIP_vector_typeIjLj3EESC_SC_SC_SC_iiiiiiiiiiiDpT3_: ; @_ZL11k_bin_bcastIXadL_ZL6op_addffEE6__halfS0_S0_JPKS0_S2_EEvPKT0_PKT1_PT2_iii15HIP_vector_typeIjLj3EESC_SC_SC_SC_iiiiiiiiiiiDpT3_
; %bb.0:
	s_clause 0x1
	s_load_b64 s[2:3], s[0:1], 0xac
	s_load_b256 s[16:23], s[0:1], 0x18
	v_bfe_u32 v1, v0, 20, 10
	s_add_u32 s34, s0, 0xa0
	s_addc_u32 s35, s1, 0
	s_waitcnt lgkmcnt(0)
	s_and_b32 s3, s3, 0xffff
	s_and_b32 s12, s2, 0xffff
	v_mad_u64_u32 v[4:5], null, s15, s3, v[1:2]
	v_and_b32_e32 v2, 0x3ff, v0
	v_bfe_u32 v5, v0, 10, 10
	s_lshr_b32 s3, s2, 16
	s_delay_alu instid0(VALU_DEP_3) | instskip(NEXT) | instid1(VALU_DEP_1)
	v_mul_hi_u32 v1, v4, s19
	v_add_nc_u32_e32 v1, v4, v1
	s_delay_alu instid0(VALU_DEP_1) | instskip(NEXT) | instid1(VALU_DEP_1)
	v_lshrrev_b32_e32 v3, s20, v1
	v_mul_lo_u32 v6, v3, s21
	v_mad_u64_u32 v[0:1], null, s13, s12, v[2:3]
	s_delay_alu instid0(VALU_DEP_2) | instskip(SKIP_1) | instid1(VALU_DEP_3)
	v_mad_u64_u32 v[1:2], null, s14, s3, v[5:6]
	v_sub_nc_u32_e32 v4, v4, v6
	v_cmp_gt_u32_e32 vcc_lo, s16, v0
	v_cmp_gt_u32_e64 s3, s18, v3
	s_delay_alu instid0(VALU_DEP_3) | instskip(SKIP_1) | instid1(VALU_DEP_1)
	v_cmp_gt_u32_e64 s4, s21, v4
	v_cmp_gt_u32_e64 s2, s17, v1
	s_and_b32 s2, vcc_lo, s2
	s_delay_alu instid0(VALU_DEP_3) | instid1(SALU_CYCLE_1)
	s_and_b32 s2, s2, s3
	s_delay_alu instid0(VALU_DEP_2) | instid1(SALU_CYCLE_1)
	s_and_b32 s2, s2, s4
	s_delay_alu instid0(SALU_CYCLE_1)
	s_and_saveexec_b32 s3, s2
	s_cbranch_execz .LBB43_6
; %bb.1:
	v_cmp_gt_i32_e32 vcc_lo, s16, v0
	s_and_b32 exec_lo, exec_lo, vcc_lo
	s_cbranch_execz .LBB43_6
; %bb.2:
	s_clause 0x4
	s_load_b256 s[36:43], s[0:1], 0x3c
	s_load_b256 s[4:11], s[0:1], 0x60
	;; [unrolled: 1-line block ×3, first 2 shown]
	s_load_b32 s13, s[0:1], 0x5c
	s_load_b64 s[2:3], s[0:1], 0x0
	s_waitcnt lgkmcnt(0)
	v_mul_hi_u32 v2, s36, v1
	v_mul_hi_u32 v5, s39, v3
	;; [unrolled: 1-line block ×3, first 2 shown]
	v_mul_lo_u32 v9, v4, s10
	v_mul_lo_u32 v10, v3, s9
	;; [unrolled: 1-line block ×3, first 2 shown]
	v_mov_b32_e32 v6, 0
	v_mul_lo_u32 v13, v3, s5
	v_add_nc_u32_e32 v2, v1, v2
	v_add_nc_u32_e32 v5, v3, v5
	s_delay_alu instid0(VALU_DEP_4)
	v_dual_mov_b32 v8, v6 :: v_dual_add_nc_u32 v7, v4, v7
	s_clause 0x1
	s_load_b32 s5, s[0:1], 0x38
	s_load_b64 s[0:1], s[0:1], 0x10
	v_lshrrev_b32_e32 v2, s37, v2
	v_lshrrev_b32_e32 v15, s40, v5
	;; [unrolled: 1-line block ×3, first 2 shown]
	v_add3_u32 v5, v10, v11, v9
	v_mul_lo_u32 v12, v4, s6
	v_mul_lo_u32 v14, v1, s4
	;; [unrolled: 1-line block ×5, first 2 shown]
	s_load_b32 s4, s[34:35], 0x0
	v_lshlrev_b64 v[5:6], 1, v[5:6]
	s_cmp_lg_u64 s[2:3], 0
	v_mul_lo_u32 v2, s7, v0
	v_add3_u32 v7, v13, v14, v12
	v_sub_nc_u32_e32 v1, v1, v9
	v_sub_nc_u32_e32 v3, v3, v10
	;; [unrolled: 1-line block ×3, first 2 shown]
	v_add_co_u32 v9, vcc_lo, s2, v5
	v_add_co_ci_u32_e32 v5, vcc_lo, s3, v6, vcc_lo
	v_lshlrev_b64 v[7:8], 1, v[7:8]
	s_delay_alu instid0(VALU_DEP_4)
	v_mul_lo_u32 v10, v4, s26
	v_mul_lo_u32 v3, v3, s25
	;; [unrolled: 1-line block ×3, first 2 shown]
	s_cselect_b32 vcc_lo, -1, 0
	s_mov_b32 s3, 0
	v_cndmask_b32_e32 v5, 0, v5, vcc_lo
	v_cndmask_b32_e32 v4, 0, v9, vcc_lo
	s_waitcnt lgkmcnt(0)
	v_add_co_u32 v6, vcc_lo, s0, v7
	v_add_co_ci_u32_e32 v7, vcc_lo, s1, v8, vcc_lo
	s_delay_alu instid0(VALU_DEP_3)
	v_cmp_ne_u64_e32 vcc_lo, 0, v[4:5]
	v_add3_u32 v8, v3, v10, v1
	s_mul_i32 s2, s4, s12
	s_sub_i32 s5, 0, s5
	s_mul_i32 s4, s2, s7
	s_branch .LBB43_4
.LBB43_3:                               ;   in Loop: Header=BB43_4 Depth=1
	s_or_b32 exec_lo, exec_lo, s1
	v_mul_hi_u32 v1, s22, v0
	v_add_nc_u32_e32 v2, s4, v2
	s_delay_alu instid0(VALU_DEP_2) | instskip(NEXT) | instid1(VALU_DEP_1)
	v_add_nc_u32_e32 v1, v0, v1
	v_lshrrev_b32_e32 v1, s23, v1
	s_delay_alu instid0(VALU_DEP_1) | instskip(NEXT) | instid1(VALU_DEP_1)
	v_mad_u64_u32 v[9:10], null, s5, v1, v[0:1]
	v_mul_lo_u32 v1, v9, s11
	s_delay_alu instid0(VALU_DEP_1) | instskip(NEXT) | instid1(VALU_DEP_1)
	v_add_co_u32 v9, s0, v1, v8
	v_add_co_ci_u32_e64 v10, null, 0, 0, s0
	s_delay_alu instid0(VALU_DEP_1) | instskip(NEXT) | instid1(VALU_DEP_1)
	v_lshlrev_b64 v[9:10], 1, v[9:10]
	v_add_co_u32 v11, s0, s28, v9
	s_delay_alu instid0(VALU_DEP_1) | instskip(SKIP_1) | instid1(VALU_DEP_1)
	v_add_co_ci_u32_e64 v12, s0, s29, v10, s0
	v_add_co_u32 v9, s0, s30, v9
	v_add_co_ci_u32_e64 v10, s0, s31, v10, s0
	global_load_u16 v1, v[11:12], off
	global_load_u16 v9, v[9:10], off
	s_waitcnt vmcnt(1)
	v_cvt_f32_f16_e32 v10, v1
	v_ashrrev_i32_e32 v1, 31, v0
	s_waitcnt vmcnt(0)
	v_cvt_f32_f16_e32 v11, v9
	s_delay_alu instid0(VALU_DEP_3) | instskip(NEXT) | instid1(VALU_DEP_3)
	v_add_f32_e32 v3, v3, v10
	v_lshlrev_b64 v[9:10], 1, v[0:1]
	s_delay_alu instid0(VALU_DEP_2) | instskip(NEXT) | instid1(VALU_DEP_1)
	v_dual_add_f32 v1, v3, v11 :: v_dual_add_nc_u32 v0, s2, v0
	v_cmp_le_i32_e64 s0, s16, v0
	s_delay_alu instid0(VALU_DEP_3) | instskip(NEXT) | instid1(VALU_DEP_3)
	v_add_co_u32 v9, s1, v6, v9
	v_cvt_f16_f32_e32 v1, v1
	v_add_co_ci_u32_e64 v10, s1, v7, v10, s1
	s_delay_alu instid0(VALU_DEP_4)
	s_or_b32 s3, s0, s3
	global_store_b16 v[9:10], v1, off
	s_and_not1_b32 exec_lo, exec_lo, s3
	s_cbranch_execz .LBB43_6
.LBB43_4:                               ; =>This Inner Loop Header: Depth=1
	v_mov_b32_e32 v3, 0
	s_and_saveexec_b32 s1, vcc_lo
	s_cbranch_execz .LBB43_3
; %bb.5:                                ;   in Loop: Header=BB43_4 Depth=1
	v_ashrrev_i32_e32 v3, 31, v2
	s_delay_alu instid0(VALU_DEP_1) | instskip(NEXT) | instid1(VALU_DEP_1)
	v_lshlrev_b64 v[9:10], 1, v[2:3]
	v_add_co_u32 v9, s0, v4, v9
	s_delay_alu instid0(VALU_DEP_1)
	v_add_co_ci_u32_e64 v10, s0, v5, v10, s0
	global_load_u16 v1, v[9:10], off
	s_waitcnt vmcnt(0)
	v_cvt_f32_f16_e32 v3, v1
	s_branch .LBB43_3
.LBB43_6:
	s_nop 0
	s_sendmsg sendmsg(MSG_DEALLOC_VGPRS)
	s_endpgm
	.section	.rodata,"a",@progbits
	.p2align	6, 0x0
	.amdhsa_kernel _ZL11k_bin_bcastIXadL_ZL6op_addffEE6__halfS0_S0_JPKS0_S2_EEvPKT0_PKT1_PT2_iii15HIP_vector_typeIjLj3EESC_SC_SC_SC_iiiiiiiiiiiDpT3_
		.amdhsa_group_segment_fixed_size 0
		.amdhsa_private_segment_fixed_size 0
		.amdhsa_kernarg_size 416
		.amdhsa_user_sgpr_count 13
		.amdhsa_user_sgpr_dispatch_ptr 0
		.amdhsa_user_sgpr_queue_ptr 0
		.amdhsa_user_sgpr_kernarg_segment_ptr 1
		.amdhsa_user_sgpr_dispatch_id 0
		.amdhsa_user_sgpr_private_segment_size 0
		.amdhsa_wavefront_size32 1
		.amdhsa_uses_dynamic_stack 0
		.amdhsa_enable_private_segment 0
		.amdhsa_system_sgpr_workgroup_id_x 1
		.amdhsa_system_sgpr_workgroup_id_y 1
		.amdhsa_system_sgpr_workgroup_id_z 1
		.amdhsa_system_sgpr_workgroup_info 0
		.amdhsa_system_vgpr_workitem_id 2
		.amdhsa_next_free_vgpr 17
		.amdhsa_next_free_sgpr 44
		.amdhsa_reserve_vcc 1
		.amdhsa_float_round_mode_32 0
		.amdhsa_float_round_mode_16_64 0
		.amdhsa_float_denorm_mode_32 3
		.amdhsa_float_denorm_mode_16_64 3
		.amdhsa_dx10_clamp 1
		.amdhsa_ieee_mode 1
		.amdhsa_fp16_overflow 0
		.amdhsa_workgroup_processor_mode 1
		.amdhsa_memory_ordered 1
		.amdhsa_forward_progress 0
		.amdhsa_shared_vgpr_count 0
		.amdhsa_exception_fp_ieee_invalid_op 0
		.amdhsa_exception_fp_denorm_src 0
		.amdhsa_exception_fp_ieee_div_zero 0
		.amdhsa_exception_fp_ieee_overflow 0
		.amdhsa_exception_fp_ieee_underflow 0
		.amdhsa_exception_fp_ieee_inexact 0
		.amdhsa_exception_int_div_zero 0
	.end_amdhsa_kernel
	.section	.text._ZL11k_bin_bcastIXadL_ZL6op_addffEE6__halfS0_S0_JPKS0_S2_EEvPKT0_PKT1_PT2_iii15HIP_vector_typeIjLj3EESC_SC_SC_SC_iiiiiiiiiiiDpT3_,"axG",@progbits,_ZL11k_bin_bcastIXadL_ZL6op_addffEE6__halfS0_S0_JPKS0_S2_EEvPKT0_PKT1_PT2_iii15HIP_vector_typeIjLj3EESC_SC_SC_SC_iiiiiiiiiiiDpT3_,comdat
.Lfunc_end43:
	.size	_ZL11k_bin_bcastIXadL_ZL6op_addffEE6__halfS0_S0_JPKS0_S2_EEvPKT0_PKT1_PT2_iii15HIP_vector_typeIjLj3EESC_SC_SC_SC_iiiiiiiiiiiDpT3_, .Lfunc_end43-_ZL11k_bin_bcastIXadL_ZL6op_addffEE6__halfS0_S0_JPKS0_S2_EEvPKT0_PKT1_PT2_iii15HIP_vector_typeIjLj3EESC_SC_SC_SC_iiiiiiiiiiiDpT3_
                                        ; -- End function
	.section	.AMDGPU.csdata,"",@progbits
; Kernel info:
; codeLenInByte = 904
; NumSgprs: 46
; NumVgprs: 17
; ScratchSize: 0
; MemoryBound: 0
; FloatMode: 240
; IeeeMode: 1
; LDSByteSize: 0 bytes/workgroup (compile time only)
; SGPRBlocks: 5
; VGPRBlocks: 2
; NumSGPRsForWavesPerEU: 46
; NumVGPRsForWavesPerEU: 17
; Occupancy: 16
; WaveLimiterHint : 1
; COMPUTE_PGM_RSRC2:SCRATCH_EN: 0
; COMPUTE_PGM_RSRC2:USER_SGPR: 13
; COMPUTE_PGM_RSRC2:TRAP_HANDLER: 0
; COMPUTE_PGM_RSRC2:TGID_X_EN: 1
; COMPUTE_PGM_RSRC2:TGID_Y_EN: 1
; COMPUTE_PGM_RSRC2:TGID_Z_EN: 1
; COMPUTE_PGM_RSRC2:TIDIG_COMP_CNT: 2
	.section	.text._ZL19k_bin_bcast_unravelIXadL_ZL6op_addffEE6__halffS0_JPKfS2_EEvPKT0_PKT1_PT2_15HIP_vector_typeIjLj3EESC_SC_jSC_SC_SC_SC_SC_SC_iiiiiiiiiiiDpT3_,"axG",@progbits,_ZL19k_bin_bcast_unravelIXadL_ZL6op_addffEE6__halffS0_JPKfS2_EEvPKT0_PKT1_PT2_15HIP_vector_typeIjLj3EESC_SC_jSC_SC_SC_SC_SC_SC_iiiiiiiiiiiDpT3_,comdat
	.globl	_ZL19k_bin_bcast_unravelIXadL_ZL6op_addffEE6__halffS0_JPKfS2_EEvPKT0_PKT1_PT2_15HIP_vector_typeIjLj3EESC_SC_jSC_SC_SC_SC_SC_SC_iiiiiiiiiiiDpT3_ ; -- Begin function _ZL19k_bin_bcast_unravelIXadL_ZL6op_addffEE6__halffS0_JPKfS2_EEvPKT0_PKT1_PT2_15HIP_vector_typeIjLj3EESC_SC_jSC_SC_SC_SC_SC_SC_iiiiiiiiiiiDpT3_
	.p2align	8
	.type	_ZL19k_bin_bcast_unravelIXadL_ZL6op_addffEE6__halffS0_JPKfS2_EEvPKT0_PKT1_PT2_15HIP_vector_typeIjLj3EESC_SC_jSC_SC_SC_SC_SC_SC_iiiiiiiiiiiDpT3_,@function
_ZL19k_bin_bcast_unravelIXadL_ZL6op_addffEE6__halffS0_JPKfS2_EEvPKT0_PKT1_PT2_15HIP_vector_typeIjLj3EESC_SC_jSC_SC_SC_SC_SC_SC_iiiiiiiiiiiDpT3_: ; @_ZL19k_bin_bcast_unravelIXadL_ZL6op_addffEE6__halffS0_JPKfS2_EEvPKT0_PKT1_PT2_15HIP_vector_typeIjLj3EESC_SC_jSC_SC_SC_SC_SC_SC_iiiiiiiiiiiDpT3_
; %bb.0:
	s_clause 0x1
	s_load_b32 s2, s[0:1], 0xd4
	s_load_b256 s[4:11], s[0:1], 0x38
	s_waitcnt lgkmcnt(0)
	s_and_b32 s2, s2, 0xffff
	s_delay_alu instid0(SALU_CYCLE_1) | instskip(SKIP_3) | instid1(VALU_DEP_1)
	v_mad_u64_u32 v[2:3], null, s15, s2, v[0:1]
	s_clause 0x1
	s_load_b128 s[12:15], s[0:1], 0x18
	s_load_b32 s2, s[0:1], 0x2c
	v_mul_hi_u32 v0, v2, s6
	s_delay_alu instid0(VALU_DEP_1) | instskip(NEXT) | instid1(VALU_DEP_1)
	v_add_nc_u32_e32 v0, v2, v0
	v_lshrrev_b32_e32 v1, s7, v0
	s_delay_alu instid0(VALU_DEP_1) | instskip(NEXT) | instid1(VALU_DEP_1)
	v_mul_lo_u32 v0, v1, s8
	v_sub_nc_u32_e32 v0, v2, v0
	s_delay_alu instid0(VALU_DEP_1) | instskip(NEXT) | instid1(VALU_DEP_1)
	v_mul_hi_u32 v2, v0, s9
	v_add_nc_u32_e32 v2, v0, v2
	s_delay_alu instid0(VALU_DEP_1) | instskip(NEXT) | instid1(VALU_DEP_1)
	v_lshrrev_b32_e32 v2, s10, v2
	v_mul_lo_u32 v3, v2, s11
	v_cmp_gt_u32_e64 s3, s4, v2
	v_cmp_gt_u32_e64 s4, s5, v1
	s_delay_alu instid0(VALU_DEP_3) | instskip(SKIP_1) | instid1(VALU_DEP_1)
	v_sub_nc_u32_e32 v0, v0, v3
	s_waitcnt lgkmcnt(0)
	v_mul_hi_u32 v3, v0, s12
	s_delay_alu instid0(VALU_DEP_1) | instskip(NEXT) | instid1(VALU_DEP_1)
	v_add_nc_u32_e32 v3, v0, v3
	v_lshrrev_b32_e32 v3, s13, v3
	s_delay_alu instid0(VALU_DEP_1) | instskip(SKIP_1) | instid1(VALU_DEP_2)
	v_mul_lo_u32 v4, v3, s14
	v_cmp_gt_u32_e64 s2, s2, v3
	v_sub_nc_u32_e32 v0, v0, v4
	s_delay_alu instid0(VALU_DEP_1) | instskip(NEXT) | instid1(VALU_DEP_3)
	v_cmp_gt_u32_e32 vcc_lo, s14, v0
	s_and_b32 s2, vcc_lo, s2
	s_delay_alu instid0(SALU_CYCLE_1) | instskip(NEXT) | instid1(SALU_CYCLE_1)
	s_and_b32 s2, s2, s3
	s_and_b32 s2, s4, s2
	s_delay_alu instid0(SALU_CYCLE_1)
	s_and_saveexec_b32 s3, s2
	s_cbranch_execz .LBB44_5
; %bb.1:
	s_clause 0x4
	s_load_b64 s[2:3], s[0:1], 0x0
	s_load_b128 s[20:23], s[0:1], 0xa8
	s_load_b256 s[4:11], s[0:1], 0x88
	s_load_b128 s[24:27], s[0:1], 0x78
	s_load_b256 s[12:19], s[0:1], 0x58
	s_waitcnt lgkmcnt(0)
	s_cmp_eq_u64 s[2:3], 0
	s_cbranch_scc1 .LBB44_3
; %bb.2:
	v_mul_lo_u32 v4, v1, s10
	v_mul_lo_u32 v6, v2, s9
	;; [unrolled: 1-line block ×3, first 2 shown]
	v_mov_b32_e32 v5, 0
	s_delay_alu instid0(VALU_DEP_2) | instskip(NEXT) | instid1(VALU_DEP_1)
	v_add3_u32 v4, v6, v4, v7
	v_lshlrev_b64 v[6:7], 1, v[4:5]
	v_mul_lo_u32 v4, v0, s7
	s_delay_alu instid0(VALU_DEP_2) | instskip(NEXT) | instid1(VALU_DEP_3)
	v_add_co_u32 v6, vcc_lo, s2, v6
	v_add_co_ci_u32_e32 v7, vcc_lo, s3, v7, vcc_lo
	s_delay_alu instid0(VALU_DEP_3) | instskip(NEXT) | instid1(VALU_DEP_1)
	v_lshlrev_b64 v[4:5], 1, v[4:5]
	v_add_co_u32 v4, vcc_lo, v6, v4
	s_delay_alu instid0(VALU_DEP_2)
	v_add_co_ci_u32_e32 v5, vcc_lo, v7, v5, vcc_lo
	global_load_u16 v4, v[4:5], off
	s_waitcnt vmcnt(0)
	v_cvt_f32_f16_e32 v4, v4
	s_branch .LBB44_4
.LBB44_3:
	v_mov_b32_e32 v4, 0
.LBB44_4:
	v_mul_hi_u32 v5, s25, v1
	v_mul_hi_u32 v6, s18, v2
	;; [unrolled: 1-line block ×4, first 2 shown]
	s_delay_alu instid0(VALU_DEP_4) | instskip(NEXT) | instid1(VALU_DEP_4)
	v_add_nc_u32_e32 v5, v1, v5
	v_add_nc_u32_e32 v6, v2, v6
	s_delay_alu instid0(VALU_DEP_4) | instskip(NEXT) | instid1(VALU_DEP_4)
	v_add_nc_u32_e32 v7, v3, v7
	v_add_nc_u32_e32 v8, v0, v8
	s_delay_alu instid0(VALU_DEP_4) | instskip(NEXT) | instid1(VALU_DEP_4)
	v_lshrrev_b32_e32 v5, s26, v5
	v_lshrrev_b32_e32 v6, s19, v6
	s_delay_alu instid0(VALU_DEP_4) | instskip(NEXT) | instid1(VALU_DEP_4)
	v_lshrrev_b32_e32 v7, s16, v7
	v_lshrrev_b32_e32 v8, s13, v8
	s_delay_alu instid0(VALU_DEP_4) | instskip(NEXT) | instid1(VALU_DEP_4)
	v_mul_lo_u32 v5, v5, s27
	v_mul_lo_u32 v6, v6, s24
	s_delay_alu instid0(VALU_DEP_4) | instskip(NEXT) | instid1(VALU_DEP_4)
	v_mul_lo_u32 v7, v7, s17
	v_mul_lo_u32 v8, v8, s14
	s_delay_alu instid0(VALU_DEP_4) | instskip(NEXT) | instid1(VALU_DEP_4)
	v_sub_nc_u32_e32 v5, v1, v5
	v_sub_nc_u32_e32 v6, v2, v6
	s_delay_alu instid0(VALU_DEP_4) | instskip(NEXT) | instid1(VALU_DEP_4)
	v_sub_nc_u32_e32 v7, v3, v7
	v_sub_nc_u32_e32 v8, v0, v8
	v_mul_lo_u32 v1, v1, s6
	v_mul_lo_u32 v5, v5, s22
	;; [unrolled: 1-line block ×5, first 2 shown]
	s_clause 0x1
	s_load_b128 s[8:11], s[0:1], 0xb8
	s_load_b64 s[0:1], s[0:1], 0x10
	v_mul_lo_u32 v2, v2, s5
	s_delay_alu instid0(VALU_DEP_3) | instskip(NEXT) | instid1(VALU_DEP_3)
	v_add3_u32 v5, v6, v5, v7
	v_ashrrev_i32_e32 v6, 31, v8
	s_delay_alu instid0(VALU_DEP_2) | instskip(SKIP_1) | instid1(VALU_DEP_2)
	v_ashrrev_i32_e32 v7, 31, v5
	v_add_co_u32 v5, vcc_lo, v8, v5
	v_add_co_ci_u32_e32 v6, vcc_lo, v6, v7, vcc_lo
	s_delay_alu instid0(VALU_DEP_1) | instskip(SKIP_1) | instid1(VALU_DEP_1)
	v_lshlrev_b64 v[5:6], 2, v[5:6]
	s_waitcnt lgkmcnt(0)
	v_add_co_u32 v7, vcc_lo, s8, v5
	s_delay_alu instid0(VALU_DEP_2)
	v_add_co_ci_u32_e32 v8, vcc_lo, s9, v6, vcc_lo
	v_add_co_u32 v5, vcc_lo, s10, v5
	v_add_co_ci_u32_e32 v6, vcc_lo, s11, v6, vcc_lo
	global_load_b32 v7, v[7:8], off
	global_load_b32 v5, v[5:6], off
	v_mul_lo_u32 v6, v3, s4
	v_mov_b32_e32 v3, 0
	s_delay_alu instid0(VALU_DEP_2) | instskip(NEXT) | instid1(VALU_DEP_2)
	v_add3_u32 v2, v2, v1, v6
	v_mov_b32_e32 v1, v3
	s_delay_alu instid0(VALU_DEP_2) | instskip(NEXT) | instid1(VALU_DEP_2)
	v_lshlrev_b64 v[2:3], 1, v[2:3]
	v_lshlrev_b64 v[0:1], 1, v[0:1]
	s_delay_alu instid0(VALU_DEP_2) | instskip(NEXT) | instid1(VALU_DEP_3)
	v_add_co_u32 v2, vcc_lo, s0, v2
	v_add_co_ci_u32_e32 v3, vcc_lo, s1, v3, vcc_lo
	s_delay_alu instid0(VALU_DEP_2) | instskip(NEXT) | instid1(VALU_DEP_2)
	v_add_co_u32 v0, vcc_lo, v2, v0
	v_add_co_ci_u32_e32 v1, vcc_lo, v3, v1, vcc_lo
	s_waitcnt vmcnt(1)
	v_add_f32_e32 v4, v4, v7
	s_waitcnt vmcnt(0)
	s_delay_alu instid0(VALU_DEP_1) | instskip(NEXT) | instid1(VALU_DEP_1)
	v_add_f32_e32 v4, v4, v5
	v_cvt_f16_f32_e32 v4, v4
	global_store_b16 v[0:1], v4, off
.LBB44_5:
	s_nop 0
	s_sendmsg sendmsg(MSG_DEALLOC_VGPRS)
	s_endpgm
	.section	.rodata,"a",@progbits
	.p2align	6, 0x0
	.amdhsa_kernel _ZL19k_bin_bcast_unravelIXadL_ZL6op_addffEE6__halffS0_JPKfS2_EEvPKT0_PKT1_PT2_15HIP_vector_typeIjLj3EESC_SC_jSC_SC_SC_SC_SC_SC_iiiiiiiiiiiDpT3_
		.amdhsa_group_segment_fixed_size 0
		.amdhsa_private_segment_fixed_size 0
		.amdhsa_kernarg_size 456
		.amdhsa_user_sgpr_count 15
		.amdhsa_user_sgpr_dispatch_ptr 0
		.amdhsa_user_sgpr_queue_ptr 0
		.amdhsa_user_sgpr_kernarg_segment_ptr 1
		.amdhsa_user_sgpr_dispatch_id 0
		.amdhsa_user_sgpr_private_segment_size 0
		.amdhsa_wavefront_size32 1
		.amdhsa_uses_dynamic_stack 0
		.amdhsa_enable_private_segment 0
		.amdhsa_system_sgpr_workgroup_id_x 1
		.amdhsa_system_sgpr_workgroup_id_y 0
		.amdhsa_system_sgpr_workgroup_id_z 0
		.amdhsa_system_sgpr_workgroup_info 0
		.amdhsa_system_vgpr_workitem_id 0
		.amdhsa_next_free_vgpr 9
		.amdhsa_next_free_sgpr 28
		.amdhsa_reserve_vcc 1
		.amdhsa_float_round_mode_32 0
		.amdhsa_float_round_mode_16_64 0
		.amdhsa_float_denorm_mode_32 3
		.amdhsa_float_denorm_mode_16_64 3
		.amdhsa_dx10_clamp 1
		.amdhsa_ieee_mode 1
		.amdhsa_fp16_overflow 0
		.amdhsa_workgroup_processor_mode 1
		.amdhsa_memory_ordered 1
		.amdhsa_forward_progress 0
		.amdhsa_shared_vgpr_count 0
		.amdhsa_exception_fp_ieee_invalid_op 0
		.amdhsa_exception_fp_denorm_src 0
		.amdhsa_exception_fp_ieee_div_zero 0
		.amdhsa_exception_fp_ieee_overflow 0
		.amdhsa_exception_fp_ieee_underflow 0
		.amdhsa_exception_fp_ieee_inexact 0
		.amdhsa_exception_int_div_zero 0
	.end_amdhsa_kernel
	.section	.text._ZL19k_bin_bcast_unravelIXadL_ZL6op_addffEE6__halffS0_JPKfS2_EEvPKT0_PKT1_PT2_15HIP_vector_typeIjLj3EESC_SC_jSC_SC_SC_SC_SC_SC_iiiiiiiiiiiDpT3_,"axG",@progbits,_ZL19k_bin_bcast_unravelIXadL_ZL6op_addffEE6__halffS0_JPKfS2_EEvPKT0_PKT1_PT2_15HIP_vector_typeIjLj3EESC_SC_jSC_SC_SC_SC_SC_SC_iiiiiiiiiiiDpT3_,comdat
.Lfunc_end44:
	.size	_ZL19k_bin_bcast_unravelIXadL_ZL6op_addffEE6__halffS0_JPKfS2_EEvPKT0_PKT1_PT2_15HIP_vector_typeIjLj3EESC_SC_jSC_SC_SC_SC_SC_SC_iiiiiiiiiiiDpT3_, .Lfunc_end44-_ZL19k_bin_bcast_unravelIXadL_ZL6op_addffEE6__halffS0_JPKfS2_EEvPKT0_PKT1_PT2_15HIP_vector_typeIjLj3EESC_SC_jSC_SC_SC_SC_SC_SC_iiiiiiiiiiiDpT3_
                                        ; -- End function
	.section	.AMDGPU.csdata,"",@progbits
; Kernel info:
; codeLenInByte = 852
; NumSgprs: 30
; NumVgprs: 9
; ScratchSize: 0
; MemoryBound: 0
; FloatMode: 240
; IeeeMode: 1
; LDSByteSize: 0 bytes/workgroup (compile time only)
; SGPRBlocks: 3
; VGPRBlocks: 1
; NumSGPRsForWavesPerEU: 30
; NumVGPRsForWavesPerEU: 9
; Occupancy: 16
; WaveLimiterHint : 1
; COMPUTE_PGM_RSRC2:SCRATCH_EN: 0
; COMPUTE_PGM_RSRC2:USER_SGPR: 15
; COMPUTE_PGM_RSRC2:TRAP_HANDLER: 0
; COMPUTE_PGM_RSRC2:TGID_X_EN: 1
; COMPUTE_PGM_RSRC2:TGID_Y_EN: 0
; COMPUTE_PGM_RSRC2:TGID_Z_EN: 0
; COMPUTE_PGM_RSRC2:TIDIG_COMP_CNT: 0
	.section	.text._ZL11k_bin_bcastIXadL_ZL6op_addffEE6__halffS0_JPKfS2_EEvPKT0_PKT1_PT2_iii15HIP_vector_typeIjLj3EESC_SC_SC_SC_iiiiiiiiiiiDpT3_,"axG",@progbits,_ZL11k_bin_bcastIXadL_ZL6op_addffEE6__halffS0_JPKfS2_EEvPKT0_PKT1_PT2_iii15HIP_vector_typeIjLj3EESC_SC_SC_SC_iiiiiiiiiiiDpT3_,comdat
	.globl	_ZL11k_bin_bcastIXadL_ZL6op_addffEE6__halffS0_JPKfS2_EEvPKT0_PKT1_PT2_iii15HIP_vector_typeIjLj3EESC_SC_SC_SC_iiiiiiiiiiiDpT3_ ; -- Begin function _ZL11k_bin_bcastIXadL_ZL6op_addffEE6__halffS0_JPKfS2_EEvPKT0_PKT1_PT2_iii15HIP_vector_typeIjLj3EESC_SC_SC_SC_iiiiiiiiiiiDpT3_
	.p2align	8
	.type	_ZL11k_bin_bcastIXadL_ZL6op_addffEE6__halffS0_JPKfS2_EEvPKT0_PKT1_PT2_iii15HIP_vector_typeIjLj3EESC_SC_SC_SC_iiiiiiiiiiiDpT3_,@function
_ZL11k_bin_bcastIXadL_ZL6op_addffEE6__halffS0_JPKfS2_EEvPKT0_PKT1_PT2_iii15HIP_vector_typeIjLj3EESC_SC_SC_SC_iiiiiiiiiiiDpT3_: ; @_ZL11k_bin_bcastIXadL_ZL6op_addffEE6__halffS0_JPKfS2_EEvPKT0_PKT1_PT2_iii15HIP_vector_typeIjLj3EESC_SC_SC_SC_iiiiiiiiiiiDpT3_
; %bb.0:
	s_clause 0x1
	s_load_b64 s[2:3], s[0:1], 0xac
	s_load_b256 s[16:23], s[0:1], 0x18
	v_bfe_u32 v1, v0, 20, 10
	s_add_u32 s34, s0, 0xa0
	s_addc_u32 s35, s1, 0
	s_waitcnt lgkmcnt(0)
	s_and_b32 s3, s3, 0xffff
	s_and_b32 s12, s2, 0xffff
	v_mad_u64_u32 v[4:5], null, s15, s3, v[1:2]
	v_and_b32_e32 v2, 0x3ff, v0
	v_bfe_u32 v5, v0, 10, 10
	s_lshr_b32 s3, s2, 16
	s_delay_alu instid0(VALU_DEP_3) | instskip(NEXT) | instid1(VALU_DEP_1)
	v_mul_hi_u32 v1, v4, s19
	v_add_nc_u32_e32 v1, v4, v1
	s_delay_alu instid0(VALU_DEP_1) | instskip(NEXT) | instid1(VALU_DEP_1)
	v_lshrrev_b32_e32 v3, s20, v1
	v_mul_lo_u32 v6, v3, s21
	v_mad_u64_u32 v[0:1], null, s13, s12, v[2:3]
	s_delay_alu instid0(VALU_DEP_2) | instskip(SKIP_1) | instid1(VALU_DEP_3)
	v_mad_u64_u32 v[1:2], null, s14, s3, v[5:6]
	v_sub_nc_u32_e32 v4, v4, v6
	v_cmp_gt_u32_e32 vcc_lo, s16, v0
	v_cmp_gt_u32_e64 s3, s18, v3
	s_delay_alu instid0(VALU_DEP_3) | instskip(SKIP_1) | instid1(VALU_DEP_1)
	v_cmp_gt_u32_e64 s4, s21, v4
	v_cmp_gt_u32_e64 s2, s17, v1
	s_and_b32 s2, vcc_lo, s2
	s_delay_alu instid0(VALU_DEP_3) | instid1(SALU_CYCLE_1)
	s_and_b32 s2, s2, s3
	s_delay_alu instid0(VALU_DEP_2) | instid1(SALU_CYCLE_1)
	s_and_b32 s2, s2, s4
	s_delay_alu instid0(SALU_CYCLE_1)
	s_and_saveexec_b32 s3, s2
	s_cbranch_execz .LBB45_6
; %bb.1:
	v_cmp_gt_i32_e32 vcc_lo, s16, v0
	s_and_b32 exec_lo, exec_lo, vcc_lo
	s_cbranch_execz .LBB45_6
; %bb.2:
	s_clause 0x4
	s_load_b256 s[36:43], s[0:1], 0x3c
	s_load_b256 s[4:11], s[0:1], 0x60
	;; [unrolled: 1-line block ×3, first 2 shown]
	s_load_b32 s13, s[0:1], 0x5c
	s_load_b64 s[2:3], s[0:1], 0x0
	s_waitcnt lgkmcnt(0)
	v_mul_hi_u32 v2, s36, v1
	v_mul_hi_u32 v5, s39, v3
	v_mul_hi_u32 v7, s42, v4
	v_mul_lo_u32 v9, v4, s10
	v_mul_lo_u32 v10, v3, s9
	v_mul_lo_u32 v11, v1, s8
	v_mov_b32_e32 v6, 0
	v_mul_lo_u32 v13, v3, s5
	v_add_nc_u32_e32 v2, v1, v2
	v_add_nc_u32_e32 v5, v3, v5
	s_delay_alu instid0(VALU_DEP_4)
	v_dual_mov_b32 v8, v6 :: v_dual_add_nc_u32 v7, v4, v7
	s_clause 0x1
	s_load_b32 s5, s[0:1], 0x38
	s_load_b64 s[0:1], s[0:1], 0x10
	v_lshrrev_b32_e32 v2, s37, v2
	v_lshrrev_b32_e32 v15, s40, v5
	;; [unrolled: 1-line block ×3, first 2 shown]
	v_add3_u32 v5, v10, v11, v9
	v_mul_lo_u32 v12, v4, s6
	v_mul_lo_u32 v14, v1, s4
	;; [unrolled: 1-line block ×5, first 2 shown]
	s_load_b32 s4, s[34:35], 0x0
	v_lshlrev_b64 v[5:6], 1, v[5:6]
	s_cmp_lg_u64 s[2:3], 0
	v_mul_lo_u32 v2, s7, v0
	v_add3_u32 v7, v13, v14, v12
	v_sub_nc_u32_e32 v1, v1, v9
	v_sub_nc_u32_e32 v3, v3, v10
	;; [unrolled: 1-line block ×3, first 2 shown]
	v_add_co_u32 v9, vcc_lo, s2, v5
	v_add_co_ci_u32_e32 v5, vcc_lo, s3, v6, vcc_lo
	v_lshlrev_b64 v[7:8], 1, v[7:8]
	s_delay_alu instid0(VALU_DEP_4)
	v_mul_lo_u32 v10, v4, s26
	v_mul_lo_u32 v3, v3, s25
	;; [unrolled: 1-line block ×3, first 2 shown]
	s_cselect_b32 vcc_lo, -1, 0
	s_mov_b32 s3, 0
	v_cndmask_b32_e32 v5, 0, v5, vcc_lo
	v_cndmask_b32_e32 v4, 0, v9, vcc_lo
	s_waitcnt lgkmcnt(0)
	v_add_co_u32 v6, vcc_lo, s0, v7
	v_add_co_ci_u32_e32 v7, vcc_lo, s1, v8, vcc_lo
	s_delay_alu instid0(VALU_DEP_3)
	v_cmp_ne_u64_e32 vcc_lo, 0, v[4:5]
	v_add3_u32 v8, v3, v10, v1
	s_mul_i32 s2, s4, s12
	s_sub_i32 s5, 0, s5
	s_mul_i32 s4, s2, s7
	s_branch .LBB45_4
.LBB45_3:                               ;   in Loop: Header=BB45_4 Depth=1
	s_or_b32 exec_lo, exec_lo, s1
	v_mul_hi_u32 v1, s22, v0
	v_add_nc_u32_e32 v2, s4, v2
	s_delay_alu instid0(VALU_DEP_2) | instskip(NEXT) | instid1(VALU_DEP_1)
	v_add_nc_u32_e32 v1, v0, v1
	v_lshrrev_b32_e32 v1, s23, v1
	s_delay_alu instid0(VALU_DEP_1) | instskip(NEXT) | instid1(VALU_DEP_1)
	v_mad_u64_u32 v[9:10], null, s5, v1, v[0:1]
	v_mul_lo_u32 v1, v9, s11
	s_delay_alu instid0(VALU_DEP_1) | instskip(NEXT) | instid1(VALU_DEP_1)
	v_add_co_u32 v9, s0, v1, v8
	v_add_co_ci_u32_e64 v10, null, 0, 0, s0
	v_ashrrev_i32_e32 v1, 31, v0
	s_delay_alu instid0(VALU_DEP_2) | instskip(NEXT) | instid1(VALU_DEP_1)
	v_lshlrev_b64 v[9:10], 2, v[9:10]
	v_add_co_u32 v11, s0, s28, v9
	s_delay_alu instid0(VALU_DEP_1) | instskip(SKIP_1) | instid1(VALU_DEP_1)
	v_add_co_ci_u32_e64 v12, s0, s29, v10, s0
	v_add_co_u32 v9, s0, s30, v9
	v_add_co_ci_u32_e64 v10, s0, s31, v10, s0
	global_load_b32 v11, v[11:12], off
	global_load_b32 v12, v[9:10], off
	v_lshlrev_b64 v[9:10], 1, v[0:1]
	v_add_nc_u32_e32 v0, s2, v0
	s_delay_alu instid0(VALU_DEP_1) | instskip(NEXT) | instid1(VALU_DEP_3)
	v_cmp_le_i32_e64 s0, s16, v0
	v_add_co_u32 v9, s1, v6, v9
	s_delay_alu instid0(VALU_DEP_1) | instskip(NEXT) | instid1(VALU_DEP_3)
	v_add_co_ci_u32_e64 v10, s1, v7, v10, s1
	s_or_b32 s3, s0, s3
	s_waitcnt vmcnt(1)
	v_add_f32_e32 v3, v3, v11
	s_waitcnt vmcnt(0)
	s_delay_alu instid0(VALU_DEP_1) | instskip(NEXT) | instid1(VALU_DEP_1)
	v_add_f32_e32 v1, v3, v12
	v_cvt_f16_f32_e32 v1, v1
	global_store_b16 v[9:10], v1, off
	s_and_not1_b32 exec_lo, exec_lo, s3
	s_cbranch_execz .LBB45_6
.LBB45_4:                               ; =>This Inner Loop Header: Depth=1
	v_mov_b32_e32 v3, 0
	s_and_saveexec_b32 s1, vcc_lo
	s_cbranch_execz .LBB45_3
; %bb.5:                                ;   in Loop: Header=BB45_4 Depth=1
	v_ashrrev_i32_e32 v3, 31, v2
	s_delay_alu instid0(VALU_DEP_1) | instskip(NEXT) | instid1(VALU_DEP_1)
	v_lshlrev_b64 v[9:10], 1, v[2:3]
	v_add_co_u32 v9, s0, v4, v9
	s_delay_alu instid0(VALU_DEP_1)
	v_add_co_ci_u32_e64 v10, s0, v5, v10, s0
	global_load_u16 v1, v[9:10], off
	s_waitcnt vmcnt(0)
	v_cvt_f32_f16_e32 v3, v1
	s_branch .LBB45_3
.LBB45_6:
	s_nop 0
	s_sendmsg sendmsg(MSG_DEALLOC_VGPRS)
	s_endpgm
	.section	.rodata,"a",@progbits
	.p2align	6, 0x0
	.amdhsa_kernel _ZL11k_bin_bcastIXadL_ZL6op_addffEE6__halffS0_JPKfS2_EEvPKT0_PKT1_PT2_iii15HIP_vector_typeIjLj3EESC_SC_SC_SC_iiiiiiiiiiiDpT3_
		.amdhsa_group_segment_fixed_size 0
		.amdhsa_private_segment_fixed_size 0
		.amdhsa_kernarg_size 416
		.amdhsa_user_sgpr_count 13
		.amdhsa_user_sgpr_dispatch_ptr 0
		.amdhsa_user_sgpr_queue_ptr 0
		.amdhsa_user_sgpr_kernarg_segment_ptr 1
		.amdhsa_user_sgpr_dispatch_id 0
		.amdhsa_user_sgpr_private_segment_size 0
		.amdhsa_wavefront_size32 1
		.amdhsa_uses_dynamic_stack 0
		.amdhsa_enable_private_segment 0
		.amdhsa_system_sgpr_workgroup_id_x 1
		.amdhsa_system_sgpr_workgroup_id_y 1
		.amdhsa_system_sgpr_workgroup_id_z 1
		.amdhsa_system_sgpr_workgroup_info 0
		.amdhsa_system_vgpr_workitem_id 2
		.amdhsa_next_free_vgpr 17
		.amdhsa_next_free_sgpr 44
		.amdhsa_reserve_vcc 1
		.amdhsa_float_round_mode_32 0
		.amdhsa_float_round_mode_16_64 0
		.amdhsa_float_denorm_mode_32 3
		.amdhsa_float_denorm_mode_16_64 3
		.amdhsa_dx10_clamp 1
		.amdhsa_ieee_mode 1
		.amdhsa_fp16_overflow 0
		.amdhsa_workgroup_processor_mode 1
		.amdhsa_memory_ordered 1
		.amdhsa_forward_progress 0
		.amdhsa_shared_vgpr_count 0
		.amdhsa_exception_fp_ieee_invalid_op 0
		.amdhsa_exception_fp_denorm_src 0
		.amdhsa_exception_fp_ieee_div_zero 0
		.amdhsa_exception_fp_ieee_overflow 0
		.amdhsa_exception_fp_ieee_underflow 0
		.amdhsa_exception_fp_ieee_inexact 0
		.amdhsa_exception_int_div_zero 0
	.end_amdhsa_kernel
	.section	.text._ZL11k_bin_bcastIXadL_ZL6op_addffEE6__halffS0_JPKfS2_EEvPKT0_PKT1_PT2_iii15HIP_vector_typeIjLj3EESC_SC_SC_SC_iiiiiiiiiiiDpT3_,"axG",@progbits,_ZL11k_bin_bcastIXadL_ZL6op_addffEE6__halffS0_JPKfS2_EEvPKT0_PKT1_PT2_iii15HIP_vector_typeIjLj3EESC_SC_SC_SC_iiiiiiiiiiiDpT3_,comdat
.Lfunc_end45:
	.size	_ZL11k_bin_bcastIXadL_ZL6op_addffEE6__halffS0_JPKfS2_EEvPKT0_PKT1_PT2_iii15HIP_vector_typeIjLj3EESC_SC_SC_SC_iiiiiiiiiiiDpT3_, .Lfunc_end45-_ZL11k_bin_bcastIXadL_ZL6op_addffEE6__halffS0_JPKfS2_EEvPKT0_PKT1_PT2_iii15HIP_vector_typeIjLj3EESC_SC_SC_SC_iiiiiiiiiiiDpT3_
                                        ; -- End function
	.section	.AMDGPU.csdata,"",@progbits
; Kernel info:
; codeLenInByte = 892
; NumSgprs: 46
; NumVgprs: 17
; ScratchSize: 0
; MemoryBound: 0
; FloatMode: 240
; IeeeMode: 1
; LDSByteSize: 0 bytes/workgroup (compile time only)
; SGPRBlocks: 5
; VGPRBlocks: 2
; NumSGPRsForWavesPerEU: 46
; NumVGPRsForWavesPerEU: 17
; Occupancy: 16
; WaveLimiterHint : 1
; COMPUTE_PGM_RSRC2:SCRATCH_EN: 0
; COMPUTE_PGM_RSRC2:USER_SGPR: 13
; COMPUTE_PGM_RSRC2:TRAP_HANDLER: 0
; COMPUTE_PGM_RSRC2:TGID_X_EN: 1
; COMPUTE_PGM_RSRC2:TGID_Y_EN: 1
; COMPUTE_PGM_RSRC2:TGID_Z_EN: 1
; COMPUTE_PGM_RSRC2:TIDIG_COMP_CNT: 2
	.section	.text._ZL19k_bin_bcast_unravelIXadL_ZL6op_addffEE6__halfffJPKfS2_EEvPKT0_PKT1_PT2_15HIP_vector_typeIjLj3EESC_SC_jSC_SC_SC_SC_SC_SC_iiiiiiiiiiiDpT3_,"axG",@progbits,_ZL19k_bin_bcast_unravelIXadL_ZL6op_addffEE6__halfffJPKfS2_EEvPKT0_PKT1_PT2_15HIP_vector_typeIjLj3EESC_SC_jSC_SC_SC_SC_SC_SC_iiiiiiiiiiiDpT3_,comdat
	.globl	_ZL19k_bin_bcast_unravelIXadL_ZL6op_addffEE6__halfffJPKfS2_EEvPKT0_PKT1_PT2_15HIP_vector_typeIjLj3EESC_SC_jSC_SC_SC_SC_SC_SC_iiiiiiiiiiiDpT3_ ; -- Begin function _ZL19k_bin_bcast_unravelIXadL_ZL6op_addffEE6__halfffJPKfS2_EEvPKT0_PKT1_PT2_15HIP_vector_typeIjLj3EESC_SC_jSC_SC_SC_SC_SC_SC_iiiiiiiiiiiDpT3_
	.p2align	8
	.type	_ZL19k_bin_bcast_unravelIXadL_ZL6op_addffEE6__halfffJPKfS2_EEvPKT0_PKT1_PT2_15HIP_vector_typeIjLj3EESC_SC_jSC_SC_SC_SC_SC_SC_iiiiiiiiiiiDpT3_,@function
_ZL19k_bin_bcast_unravelIXadL_ZL6op_addffEE6__halfffJPKfS2_EEvPKT0_PKT1_PT2_15HIP_vector_typeIjLj3EESC_SC_jSC_SC_SC_SC_SC_SC_iiiiiiiiiiiDpT3_: ; @_ZL19k_bin_bcast_unravelIXadL_ZL6op_addffEE6__halfffJPKfS2_EEvPKT0_PKT1_PT2_15HIP_vector_typeIjLj3EESC_SC_jSC_SC_SC_SC_SC_SC_iiiiiiiiiiiDpT3_
; %bb.0:
	s_clause 0x1
	s_load_b32 s2, s[0:1], 0xd4
	s_load_b256 s[4:11], s[0:1], 0x38
	s_waitcnt lgkmcnt(0)
	s_and_b32 s2, s2, 0xffff
	s_delay_alu instid0(SALU_CYCLE_1) | instskip(SKIP_3) | instid1(VALU_DEP_1)
	v_mad_u64_u32 v[2:3], null, s15, s2, v[0:1]
	s_clause 0x1
	s_load_b128 s[12:15], s[0:1], 0x18
	s_load_b32 s2, s[0:1], 0x2c
	v_mul_hi_u32 v0, v2, s6
	s_delay_alu instid0(VALU_DEP_1) | instskip(NEXT) | instid1(VALU_DEP_1)
	v_add_nc_u32_e32 v0, v2, v0
	v_lshrrev_b32_e32 v1, s7, v0
	s_delay_alu instid0(VALU_DEP_1) | instskip(NEXT) | instid1(VALU_DEP_1)
	v_mul_lo_u32 v0, v1, s8
	v_sub_nc_u32_e32 v0, v2, v0
	s_delay_alu instid0(VALU_DEP_1) | instskip(NEXT) | instid1(VALU_DEP_1)
	v_mul_hi_u32 v2, v0, s9
	v_add_nc_u32_e32 v2, v0, v2
	s_delay_alu instid0(VALU_DEP_1) | instskip(NEXT) | instid1(VALU_DEP_1)
	v_lshrrev_b32_e32 v2, s10, v2
	v_mul_lo_u32 v3, v2, s11
	v_cmp_gt_u32_e64 s3, s4, v2
	v_cmp_gt_u32_e64 s4, s5, v1
	s_delay_alu instid0(VALU_DEP_3) | instskip(SKIP_1) | instid1(VALU_DEP_1)
	v_sub_nc_u32_e32 v0, v0, v3
	s_waitcnt lgkmcnt(0)
	v_mul_hi_u32 v3, v0, s12
	s_delay_alu instid0(VALU_DEP_1) | instskip(NEXT) | instid1(VALU_DEP_1)
	v_add_nc_u32_e32 v3, v0, v3
	v_lshrrev_b32_e32 v3, s13, v3
	s_delay_alu instid0(VALU_DEP_1) | instskip(SKIP_1) | instid1(VALU_DEP_2)
	v_mul_lo_u32 v4, v3, s14
	v_cmp_gt_u32_e64 s2, s2, v3
	v_sub_nc_u32_e32 v0, v0, v4
	s_delay_alu instid0(VALU_DEP_1) | instskip(NEXT) | instid1(VALU_DEP_3)
	v_cmp_gt_u32_e32 vcc_lo, s14, v0
	s_and_b32 s2, vcc_lo, s2
	s_delay_alu instid0(SALU_CYCLE_1) | instskip(NEXT) | instid1(SALU_CYCLE_1)
	s_and_b32 s2, s2, s3
	s_and_b32 s2, s4, s2
	s_delay_alu instid0(SALU_CYCLE_1)
	s_and_saveexec_b32 s3, s2
	s_cbranch_execz .LBB46_5
; %bb.1:
	s_clause 0x4
	s_load_b64 s[2:3], s[0:1], 0x0
	s_load_b128 s[20:23], s[0:1], 0xa8
	s_load_b256 s[4:11], s[0:1], 0x88
	s_load_b128 s[24:27], s[0:1], 0x78
	s_load_b256 s[12:19], s[0:1], 0x58
	s_waitcnt lgkmcnt(0)
	s_cmp_eq_u64 s[2:3], 0
	s_cbranch_scc1 .LBB46_3
; %bb.2:
	v_mul_lo_u32 v4, v1, s10
	v_mul_lo_u32 v6, v2, s9
	;; [unrolled: 1-line block ×3, first 2 shown]
	v_mov_b32_e32 v5, 0
	s_delay_alu instid0(VALU_DEP_2) | instskip(NEXT) | instid1(VALU_DEP_1)
	v_add3_u32 v4, v6, v4, v7
	v_lshlrev_b64 v[6:7], 1, v[4:5]
	v_mul_lo_u32 v4, v0, s7
	s_delay_alu instid0(VALU_DEP_2) | instskip(NEXT) | instid1(VALU_DEP_3)
	v_add_co_u32 v6, vcc_lo, s2, v6
	v_add_co_ci_u32_e32 v7, vcc_lo, s3, v7, vcc_lo
	s_delay_alu instid0(VALU_DEP_3) | instskip(NEXT) | instid1(VALU_DEP_1)
	v_lshlrev_b64 v[4:5], 1, v[4:5]
	v_add_co_u32 v4, vcc_lo, v6, v4
	s_delay_alu instid0(VALU_DEP_2)
	v_add_co_ci_u32_e32 v5, vcc_lo, v7, v5, vcc_lo
	global_load_u16 v4, v[4:5], off
	s_waitcnt vmcnt(0)
	v_cvt_f32_f16_e32 v4, v4
	s_branch .LBB46_4
.LBB46_3:
	v_mov_b32_e32 v4, 0
.LBB46_4:
	v_mul_hi_u32 v5, s25, v1
	v_mul_hi_u32 v6, s18, v2
	;; [unrolled: 1-line block ×4, first 2 shown]
	s_delay_alu instid0(VALU_DEP_4) | instskip(NEXT) | instid1(VALU_DEP_4)
	v_add_nc_u32_e32 v5, v1, v5
	v_add_nc_u32_e32 v6, v2, v6
	s_delay_alu instid0(VALU_DEP_4) | instskip(NEXT) | instid1(VALU_DEP_4)
	v_add_nc_u32_e32 v7, v3, v7
	v_add_nc_u32_e32 v8, v0, v8
	s_delay_alu instid0(VALU_DEP_4) | instskip(NEXT) | instid1(VALU_DEP_4)
	v_lshrrev_b32_e32 v5, s26, v5
	v_lshrrev_b32_e32 v6, s19, v6
	s_delay_alu instid0(VALU_DEP_4) | instskip(NEXT) | instid1(VALU_DEP_4)
	v_lshrrev_b32_e32 v7, s16, v7
	v_lshrrev_b32_e32 v8, s13, v8
	s_delay_alu instid0(VALU_DEP_4) | instskip(NEXT) | instid1(VALU_DEP_4)
	v_mul_lo_u32 v5, v5, s27
	v_mul_lo_u32 v6, v6, s24
	s_delay_alu instid0(VALU_DEP_4) | instskip(NEXT) | instid1(VALU_DEP_4)
	v_mul_lo_u32 v7, v7, s17
	v_mul_lo_u32 v8, v8, s14
	s_delay_alu instid0(VALU_DEP_4) | instskip(NEXT) | instid1(VALU_DEP_4)
	v_sub_nc_u32_e32 v5, v1, v5
	v_sub_nc_u32_e32 v6, v2, v6
	s_delay_alu instid0(VALU_DEP_4) | instskip(NEXT) | instid1(VALU_DEP_4)
	v_sub_nc_u32_e32 v7, v3, v7
	v_sub_nc_u32_e32 v8, v0, v8
	v_mul_lo_u32 v1, v1, s6
	v_mul_lo_u32 v5, v5, s22
	;; [unrolled: 1-line block ×5, first 2 shown]
	s_clause 0x1
	s_load_b128 s[8:11], s[0:1], 0xb8
	s_load_b64 s[0:1], s[0:1], 0x10
	v_mul_lo_u32 v2, v2, s5
	s_delay_alu instid0(VALU_DEP_3) | instskip(NEXT) | instid1(VALU_DEP_3)
	v_add3_u32 v5, v6, v5, v7
	v_ashrrev_i32_e32 v6, 31, v8
	s_delay_alu instid0(VALU_DEP_2) | instskip(SKIP_1) | instid1(VALU_DEP_2)
	v_ashrrev_i32_e32 v7, 31, v5
	v_add_co_u32 v5, vcc_lo, v8, v5
	v_add_co_ci_u32_e32 v6, vcc_lo, v6, v7, vcc_lo
	s_delay_alu instid0(VALU_DEP_1) | instskip(SKIP_1) | instid1(VALU_DEP_1)
	v_lshlrev_b64 v[5:6], 2, v[5:6]
	s_waitcnt lgkmcnt(0)
	v_add_co_u32 v7, vcc_lo, s8, v5
	s_delay_alu instid0(VALU_DEP_2)
	v_add_co_ci_u32_e32 v8, vcc_lo, s9, v6, vcc_lo
	v_add_co_u32 v5, vcc_lo, s10, v5
	v_add_co_ci_u32_e32 v6, vcc_lo, s11, v6, vcc_lo
	global_load_b32 v7, v[7:8], off
	global_load_b32 v5, v[5:6], off
	v_mul_lo_u32 v6, v3, s4
	v_mov_b32_e32 v3, 0
	s_delay_alu instid0(VALU_DEP_2) | instskip(NEXT) | instid1(VALU_DEP_2)
	v_add3_u32 v2, v2, v1, v6
	v_mov_b32_e32 v1, v3
	s_delay_alu instid0(VALU_DEP_2) | instskip(NEXT) | instid1(VALU_DEP_2)
	v_lshlrev_b64 v[2:3], 2, v[2:3]
	v_lshlrev_b64 v[0:1], 2, v[0:1]
	s_delay_alu instid0(VALU_DEP_2) | instskip(NEXT) | instid1(VALU_DEP_3)
	v_add_co_u32 v2, vcc_lo, s0, v2
	v_add_co_ci_u32_e32 v3, vcc_lo, s1, v3, vcc_lo
	s_delay_alu instid0(VALU_DEP_2) | instskip(NEXT) | instid1(VALU_DEP_2)
	v_add_co_u32 v0, vcc_lo, v2, v0
	v_add_co_ci_u32_e32 v1, vcc_lo, v3, v1, vcc_lo
	s_waitcnt vmcnt(1)
	v_add_f32_e32 v4, v4, v7
	s_waitcnt vmcnt(0)
	s_delay_alu instid0(VALU_DEP_1)
	v_add_f32_e32 v4, v4, v5
	global_store_b32 v[0:1], v4, off
.LBB46_5:
	s_nop 0
	s_sendmsg sendmsg(MSG_DEALLOC_VGPRS)
	s_endpgm
	.section	.rodata,"a",@progbits
	.p2align	6, 0x0
	.amdhsa_kernel _ZL19k_bin_bcast_unravelIXadL_ZL6op_addffEE6__halfffJPKfS2_EEvPKT0_PKT1_PT2_15HIP_vector_typeIjLj3EESC_SC_jSC_SC_SC_SC_SC_SC_iiiiiiiiiiiDpT3_
		.amdhsa_group_segment_fixed_size 0
		.amdhsa_private_segment_fixed_size 0
		.amdhsa_kernarg_size 456
		.amdhsa_user_sgpr_count 15
		.amdhsa_user_sgpr_dispatch_ptr 0
		.amdhsa_user_sgpr_queue_ptr 0
		.amdhsa_user_sgpr_kernarg_segment_ptr 1
		.amdhsa_user_sgpr_dispatch_id 0
		.amdhsa_user_sgpr_private_segment_size 0
		.amdhsa_wavefront_size32 1
		.amdhsa_uses_dynamic_stack 0
		.amdhsa_enable_private_segment 0
		.amdhsa_system_sgpr_workgroup_id_x 1
		.amdhsa_system_sgpr_workgroup_id_y 0
		.amdhsa_system_sgpr_workgroup_id_z 0
		.amdhsa_system_sgpr_workgroup_info 0
		.amdhsa_system_vgpr_workitem_id 0
		.amdhsa_next_free_vgpr 9
		.amdhsa_next_free_sgpr 28
		.amdhsa_reserve_vcc 1
		.amdhsa_float_round_mode_32 0
		.amdhsa_float_round_mode_16_64 0
		.amdhsa_float_denorm_mode_32 3
		.amdhsa_float_denorm_mode_16_64 3
		.amdhsa_dx10_clamp 1
		.amdhsa_ieee_mode 1
		.amdhsa_fp16_overflow 0
		.amdhsa_workgroup_processor_mode 1
		.amdhsa_memory_ordered 1
		.amdhsa_forward_progress 0
		.amdhsa_shared_vgpr_count 0
		.amdhsa_exception_fp_ieee_invalid_op 0
		.amdhsa_exception_fp_denorm_src 0
		.amdhsa_exception_fp_ieee_div_zero 0
		.amdhsa_exception_fp_ieee_overflow 0
		.amdhsa_exception_fp_ieee_underflow 0
		.amdhsa_exception_fp_ieee_inexact 0
		.amdhsa_exception_int_div_zero 0
	.end_amdhsa_kernel
	.section	.text._ZL19k_bin_bcast_unravelIXadL_ZL6op_addffEE6__halfffJPKfS2_EEvPKT0_PKT1_PT2_15HIP_vector_typeIjLj3EESC_SC_jSC_SC_SC_SC_SC_SC_iiiiiiiiiiiDpT3_,"axG",@progbits,_ZL19k_bin_bcast_unravelIXadL_ZL6op_addffEE6__halfffJPKfS2_EEvPKT0_PKT1_PT2_15HIP_vector_typeIjLj3EESC_SC_jSC_SC_SC_SC_SC_SC_iiiiiiiiiiiDpT3_,comdat
.Lfunc_end46:
	.size	_ZL19k_bin_bcast_unravelIXadL_ZL6op_addffEE6__halfffJPKfS2_EEvPKT0_PKT1_PT2_15HIP_vector_typeIjLj3EESC_SC_jSC_SC_SC_SC_SC_SC_iiiiiiiiiiiDpT3_, .Lfunc_end46-_ZL19k_bin_bcast_unravelIXadL_ZL6op_addffEE6__halfffJPKfS2_EEvPKT0_PKT1_PT2_15HIP_vector_typeIjLj3EESC_SC_jSC_SC_SC_SC_SC_SC_iiiiiiiiiiiDpT3_
                                        ; -- End function
	.section	.AMDGPU.csdata,"",@progbits
; Kernel info:
; codeLenInByte = 848
; NumSgprs: 30
; NumVgprs: 9
; ScratchSize: 0
; MemoryBound: 0
; FloatMode: 240
; IeeeMode: 1
; LDSByteSize: 0 bytes/workgroup (compile time only)
; SGPRBlocks: 3
; VGPRBlocks: 1
; NumSGPRsForWavesPerEU: 30
; NumVGPRsForWavesPerEU: 9
; Occupancy: 16
; WaveLimiterHint : 1
; COMPUTE_PGM_RSRC2:SCRATCH_EN: 0
; COMPUTE_PGM_RSRC2:USER_SGPR: 15
; COMPUTE_PGM_RSRC2:TRAP_HANDLER: 0
; COMPUTE_PGM_RSRC2:TGID_X_EN: 1
; COMPUTE_PGM_RSRC2:TGID_Y_EN: 0
; COMPUTE_PGM_RSRC2:TGID_Z_EN: 0
; COMPUTE_PGM_RSRC2:TIDIG_COMP_CNT: 0
	.section	.text._ZL11k_bin_bcastIXadL_ZL6op_addffEE6__halfffJPKfS2_EEvPKT0_PKT1_PT2_iii15HIP_vector_typeIjLj3EESC_SC_SC_SC_iiiiiiiiiiiDpT3_,"axG",@progbits,_ZL11k_bin_bcastIXadL_ZL6op_addffEE6__halfffJPKfS2_EEvPKT0_PKT1_PT2_iii15HIP_vector_typeIjLj3EESC_SC_SC_SC_iiiiiiiiiiiDpT3_,comdat
	.globl	_ZL11k_bin_bcastIXadL_ZL6op_addffEE6__halfffJPKfS2_EEvPKT0_PKT1_PT2_iii15HIP_vector_typeIjLj3EESC_SC_SC_SC_iiiiiiiiiiiDpT3_ ; -- Begin function _ZL11k_bin_bcastIXadL_ZL6op_addffEE6__halfffJPKfS2_EEvPKT0_PKT1_PT2_iii15HIP_vector_typeIjLj3EESC_SC_SC_SC_iiiiiiiiiiiDpT3_
	.p2align	8
	.type	_ZL11k_bin_bcastIXadL_ZL6op_addffEE6__halfffJPKfS2_EEvPKT0_PKT1_PT2_iii15HIP_vector_typeIjLj3EESC_SC_SC_SC_iiiiiiiiiiiDpT3_,@function
_ZL11k_bin_bcastIXadL_ZL6op_addffEE6__halfffJPKfS2_EEvPKT0_PKT1_PT2_iii15HIP_vector_typeIjLj3EESC_SC_SC_SC_iiiiiiiiiiiDpT3_: ; @_ZL11k_bin_bcastIXadL_ZL6op_addffEE6__halfffJPKfS2_EEvPKT0_PKT1_PT2_iii15HIP_vector_typeIjLj3EESC_SC_SC_SC_iiiiiiiiiiiDpT3_
; %bb.0:
	s_clause 0x1
	s_load_b64 s[2:3], s[0:1], 0xac
	s_load_b256 s[16:23], s[0:1], 0x18
	v_bfe_u32 v1, v0, 20, 10
	s_add_u32 s34, s0, 0xa0
	s_addc_u32 s35, s1, 0
	s_waitcnt lgkmcnt(0)
	s_and_b32 s3, s3, 0xffff
	s_and_b32 s12, s2, 0xffff
	v_mad_u64_u32 v[4:5], null, s15, s3, v[1:2]
	v_and_b32_e32 v2, 0x3ff, v0
	v_bfe_u32 v5, v0, 10, 10
	s_lshr_b32 s3, s2, 16
	s_delay_alu instid0(VALU_DEP_3) | instskip(NEXT) | instid1(VALU_DEP_1)
	v_mul_hi_u32 v1, v4, s19
	v_add_nc_u32_e32 v1, v4, v1
	s_delay_alu instid0(VALU_DEP_1) | instskip(NEXT) | instid1(VALU_DEP_1)
	v_lshrrev_b32_e32 v3, s20, v1
	v_mul_lo_u32 v6, v3, s21
	v_mad_u64_u32 v[0:1], null, s13, s12, v[2:3]
	s_delay_alu instid0(VALU_DEP_2) | instskip(SKIP_1) | instid1(VALU_DEP_3)
	v_mad_u64_u32 v[1:2], null, s14, s3, v[5:6]
	v_sub_nc_u32_e32 v4, v4, v6
	v_cmp_gt_u32_e32 vcc_lo, s16, v0
	v_cmp_gt_u32_e64 s3, s18, v3
	s_delay_alu instid0(VALU_DEP_3) | instskip(SKIP_1) | instid1(VALU_DEP_1)
	v_cmp_gt_u32_e64 s4, s21, v4
	v_cmp_gt_u32_e64 s2, s17, v1
	s_and_b32 s2, vcc_lo, s2
	s_delay_alu instid0(VALU_DEP_3) | instid1(SALU_CYCLE_1)
	s_and_b32 s2, s2, s3
	s_delay_alu instid0(VALU_DEP_2) | instid1(SALU_CYCLE_1)
	s_and_b32 s2, s2, s4
	s_delay_alu instid0(SALU_CYCLE_1)
	s_and_saveexec_b32 s3, s2
	s_cbranch_execz .LBB47_6
; %bb.1:
	v_cmp_gt_i32_e32 vcc_lo, s16, v0
	s_and_b32 exec_lo, exec_lo, vcc_lo
	s_cbranch_execz .LBB47_6
; %bb.2:
	s_clause 0x4
	s_load_b256 s[36:43], s[0:1], 0x3c
	s_load_b256 s[4:11], s[0:1], 0x60
	s_load_b256 s[24:31], s[0:1], 0x80
	s_load_b32 s13, s[0:1], 0x5c
	s_load_b64 s[2:3], s[0:1], 0x0
	s_waitcnt lgkmcnt(0)
	v_mul_hi_u32 v2, s36, v1
	v_mul_hi_u32 v5, s39, v3
	;; [unrolled: 1-line block ×3, first 2 shown]
	v_mul_lo_u32 v9, v4, s10
	v_mul_lo_u32 v10, v3, s9
	;; [unrolled: 1-line block ×3, first 2 shown]
	v_mov_b32_e32 v6, 0
	v_mul_lo_u32 v13, v3, s5
	v_add_nc_u32_e32 v2, v1, v2
	v_add_nc_u32_e32 v5, v3, v5
	s_delay_alu instid0(VALU_DEP_4)
	v_dual_mov_b32 v8, v6 :: v_dual_add_nc_u32 v7, v4, v7
	s_clause 0x1
	s_load_b32 s5, s[0:1], 0x38
	s_load_b64 s[0:1], s[0:1], 0x10
	v_lshrrev_b32_e32 v2, s37, v2
	v_lshrrev_b32_e32 v15, s40, v5
	;; [unrolled: 1-line block ×3, first 2 shown]
	v_add3_u32 v5, v10, v11, v9
	v_mul_lo_u32 v12, v4, s6
	v_mul_lo_u32 v14, v1, s4
	v_mul_lo_u32 v9, v2, s38
	v_mul_lo_u32 v10, v15, s41
	v_mul_lo_u32 v11, v16, s13
	s_load_b32 s4, s[34:35], 0x0
	v_lshlrev_b64 v[5:6], 1, v[5:6]
	s_cmp_lg_u64 s[2:3], 0
	v_mul_lo_u32 v2, s7, v0
	v_add3_u32 v7, v13, v14, v12
	v_sub_nc_u32_e32 v1, v1, v9
	v_sub_nc_u32_e32 v3, v3, v10
	;; [unrolled: 1-line block ×3, first 2 shown]
	v_add_co_u32 v9, vcc_lo, s2, v5
	v_add_co_ci_u32_e32 v5, vcc_lo, s3, v6, vcc_lo
	v_lshlrev_b64 v[7:8], 2, v[7:8]
	s_delay_alu instid0(VALU_DEP_4)
	v_mul_lo_u32 v10, v4, s26
	v_mul_lo_u32 v3, v3, s25
	;; [unrolled: 1-line block ×3, first 2 shown]
	s_cselect_b32 vcc_lo, -1, 0
	s_mov_b32 s3, 0
	v_cndmask_b32_e32 v5, 0, v5, vcc_lo
	v_cndmask_b32_e32 v4, 0, v9, vcc_lo
	s_waitcnt lgkmcnt(0)
	v_add_co_u32 v6, vcc_lo, s0, v7
	v_add_co_ci_u32_e32 v7, vcc_lo, s1, v8, vcc_lo
	s_delay_alu instid0(VALU_DEP_3)
	v_cmp_ne_u64_e32 vcc_lo, 0, v[4:5]
	v_add3_u32 v8, v3, v10, v1
	s_mul_i32 s2, s4, s12
	s_sub_i32 s5, 0, s5
	s_mul_i32 s4, s2, s7
	s_branch .LBB47_4
.LBB47_3:                               ;   in Loop: Header=BB47_4 Depth=1
	s_or_b32 exec_lo, exec_lo, s1
	v_mul_hi_u32 v1, s22, v0
	v_add_nc_u32_e32 v2, s4, v2
	s_delay_alu instid0(VALU_DEP_2) | instskip(NEXT) | instid1(VALU_DEP_1)
	v_add_nc_u32_e32 v1, v0, v1
	v_lshrrev_b32_e32 v1, s23, v1
	s_delay_alu instid0(VALU_DEP_1) | instskip(NEXT) | instid1(VALU_DEP_1)
	v_mad_u64_u32 v[9:10], null, s5, v1, v[0:1]
	v_mul_lo_u32 v1, v9, s11
	s_delay_alu instid0(VALU_DEP_1) | instskip(NEXT) | instid1(VALU_DEP_1)
	v_add_co_u32 v9, s0, v1, v8
	v_add_co_ci_u32_e64 v10, null, 0, 0, s0
	v_ashrrev_i32_e32 v1, 31, v0
	s_delay_alu instid0(VALU_DEP_2) | instskip(NEXT) | instid1(VALU_DEP_1)
	v_lshlrev_b64 v[9:10], 2, v[9:10]
	v_add_co_u32 v11, s0, s28, v9
	s_delay_alu instid0(VALU_DEP_1) | instskip(SKIP_1) | instid1(VALU_DEP_1)
	v_add_co_ci_u32_e64 v12, s0, s29, v10, s0
	v_add_co_u32 v9, s0, s30, v9
	v_add_co_ci_u32_e64 v10, s0, s31, v10, s0
	global_load_b32 v11, v[11:12], off
	global_load_b32 v12, v[9:10], off
	v_lshlrev_b64 v[9:10], 2, v[0:1]
	v_add_nc_u32_e32 v0, s2, v0
	s_delay_alu instid0(VALU_DEP_2) | instskip(NEXT) | instid1(VALU_DEP_1)
	v_add_co_u32 v9, s1, v6, v9
	v_add_co_ci_u32_e64 v10, s1, v7, v10, s1
	s_waitcnt vmcnt(1)
	v_add_f32_e32 v1, v3, v11
	v_cmp_le_i32_e64 s0, s16, v0
	s_waitcnt vmcnt(0)
	s_delay_alu instid0(VALU_DEP_2) | instskip(NEXT) | instid1(VALU_DEP_2)
	v_add_f32_e32 v1, v1, v12
	s_or_b32 s3, s0, s3
	global_store_b32 v[9:10], v1, off
	s_and_not1_b32 exec_lo, exec_lo, s3
	s_cbranch_execz .LBB47_6
.LBB47_4:                               ; =>This Inner Loop Header: Depth=1
	v_mov_b32_e32 v3, 0
	s_and_saveexec_b32 s1, vcc_lo
	s_cbranch_execz .LBB47_3
; %bb.5:                                ;   in Loop: Header=BB47_4 Depth=1
	v_ashrrev_i32_e32 v3, 31, v2
	s_delay_alu instid0(VALU_DEP_1) | instskip(NEXT) | instid1(VALU_DEP_1)
	v_lshlrev_b64 v[9:10], 1, v[2:3]
	v_add_co_u32 v9, s0, v4, v9
	s_delay_alu instid0(VALU_DEP_1)
	v_add_co_ci_u32_e64 v10, s0, v5, v10, s0
	global_load_u16 v1, v[9:10], off
	s_waitcnt vmcnt(0)
	v_cvt_f32_f16_e32 v3, v1
	s_branch .LBB47_3
.LBB47_6:
	s_nop 0
	s_sendmsg sendmsg(MSG_DEALLOC_VGPRS)
	s_endpgm
	.section	.rodata,"a",@progbits
	.p2align	6, 0x0
	.amdhsa_kernel _ZL11k_bin_bcastIXadL_ZL6op_addffEE6__halfffJPKfS2_EEvPKT0_PKT1_PT2_iii15HIP_vector_typeIjLj3EESC_SC_SC_SC_iiiiiiiiiiiDpT3_
		.amdhsa_group_segment_fixed_size 0
		.amdhsa_private_segment_fixed_size 0
		.amdhsa_kernarg_size 416
		.amdhsa_user_sgpr_count 13
		.amdhsa_user_sgpr_dispatch_ptr 0
		.amdhsa_user_sgpr_queue_ptr 0
		.amdhsa_user_sgpr_kernarg_segment_ptr 1
		.amdhsa_user_sgpr_dispatch_id 0
		.amdhsa_user_sgpr_private_segment_size 0
		.amdhsa_wavefront_size32 1
		.amdhsa_uses_dynamic_stack 0
		.amdhsa_enable_private_segment 0
		.amdhsa_system_sgpr_workgroup_id_x 1
		.amdhsa_system_sgpr_workgroup_id_y 1
		.amdhsa_system_sgpr_workgroup_id_z 1
		.amdhsa_system_sgpr_workgroup_info 0
		.amdhsa_system_vgpr_workitem_id 2
		.amdhsa_next_free_vgpr 17
		.amdhsa_next_free_sgpr 44
		.amdhsa_reserve_vcc 1
		.amdhsa_float_round_mode_32 0
		.amdhsa_float_round_mode_16_64 0
		.amdhsa_float_denorm_mode_32 3
		.amdhsa_float_denorm_mode_16_64 3
		.amdhsa_dx10_clamp 1
		.amdhsa_ieee_mode 1
		.amdhsa_fp16_overflow 0
		.amdhsa_workgroup_processor_mode 1
		.amdhsa_memory_ordered 1
		.amdhsa_forward_progress 0
		.amdhsa_shared_vgpr_count 0
		.amdhsa_exception_fp_ieee_invalid_op 0
		.amdhsa_exception_fp_denorm_src 0
		.amdhsa_exception_fp_ieee_div_zero 0
		.amdhsa_exception_fp_ieee_overflow 0
		.amdhsa_exception_fp_ieee_underflow 0
		.amdhsa_exception_fp_ieee_inexact 0
		.amdhsa_exception_int_div_zero 0
	.end_amdhsa_kernel
	.section	.text._ZL11k_bin_bcastIXadL_ZL6op_addffEE6__halfffJPKfS2_EEvPKT0_PKT1_PT2_iii15HIP_vector_typeIjLj3EESC_SC_SC_SC_iiiiiiiiiiiDpT3_,"axG",@progbits,_ZL11k_bin_bcastIXadL_ZL6op_addffEE6__halfffJPKfS2_EEvPKT0_PKT1_PT2_iii15HIP_vector_typeIjLj3EESC_SC_SC_SC_iiiiiiiiiiiDpT3_,comdat
.Lfunc_end47:
	.size	_ZL11k_bin_bcastIXadL_ZL6op_addffEE6__halfffJPKfS2_EEvPKT0_PKT1_PT2_iii15HIP_vector_typeIjLj3EESC_SC_SC_SC_iiiiiiiiiiiDpT3_, .Lfunc_end47-_ZL11k_bin_bcastIXadL_ZL6op_addffEE6__halfffJPKfS2_EEvPKT0_PKT1_PT2_iii15HIP_vector_typeIjLj3EESC_SC_SC_SC_iiiiiiiiiiiDpT3_
                                        ; -- End function
	.section	.AMDGPU.csdata,"",@progbits
; Kernel info:
; codeLenInByte = 884
; NumSgprs: 46
; NumVgprs: 17
; ScratchSize: 0
; MemoryBound: 0
; FloatMode: 240
; IeeeMode: 1
; LDSByteSize: 0 bytes/workgroup (compile time only)
; SGPRBlocks: 5
; VGPRBlocks: 2
; NumSGPRsForWavesPerEU: 46
; NumVGPRsForWavesPerEU: 17
; Occupancy: 16
; WaveLimiterHint : 1
; COMPUTE_PGM_RSRC2:SCRATCH_EN: 0
; COMPUTE_PGM_RSRC2:USER_SGPR: 13
; COMPUTE_PGM_RSRC2:TRAP_HANDLER: 0
; COMPUTE_PGM_RSRC2:TGID_X_EN: 1
; COMPUTE_PGM_RSRC2:TGID_Y_EN: 1
; COMPUTE_PGM_RSRC2:TGID_Z_EN: 1
; COMPUTE_PGM_RSRC2:TIDIG_COMP_CNT: 2
	.section	.text._ZL19k_bin_bcast_unravelIXadL_ZL6op_addffEEfffJPKfS1_S1_EEvPKT0_PKT1_PT2_15HIP_vector_typeIjLj3EESB_SB_jSB_SB_SB_SB_SB_SB_iiiiiiiiiiiDpT3_,"axG",@progbits,_ZL19k_bin_bcast_unravelIXadL_ZL6op_addffEEfffJPKfS1_S1_EEvPKT0_PKT1_PT2_15HIP_vector_typeIjLj3EESB_SB_jSB_SB_SB_SB_SB_SB_iiiiiiiiiiiDpT3_,comdat
	.globl	_ZL19k_bin_bcast_unravelIXadL_ZL6op_addffEEfffJPKfS1_S1_EEvPKT0_PKT1_PT2_15HIP_vector_typeIjLj3EESB_SB_jSB_SB_SB_SB_SB_SB_iiiiiiiiiiiDpT3_ ; -- Begin function _ZL19k_bin_bcast_unravelIXadL_ZL6op_addffEEfffJPKfS1_S1_EEvPKT0_PKT1_PT2_15HIP_vector_typeIjLj3EESB_SB_jSB_SB_SB_SB_SB_SB_iiiiiiiiiiiDpT3_
	.p2align	8
	.type	_ZL19k_bin_bcast_unravelIXadL_ZL6op_addffEEfffJPKfS1_S1_EEvPKT0_PKT1_PT2_15HIP_vector_typeIjLj3EESB_SB_jSB_SB_SB_SB_SB_SB_iiiiiiiiiiiDpT3_,@function
_ZL19k_bin_bcast_unravelIXadL_ZL6op_addffEEfffJPKfS1_S1_EEvPKT0_PKT1_PT2_15HIP_vector_typeIjLj3EESB_SB_jSB_SB_SB_SB_SB_SB_iiiiiiiiiiiDpT3_: ; @_ZL19k_bin_bcast_unravelIXadL_ZL6op_addffEEfffJPKfS1_S1_EEvPKT0_PKT1_PT2_15HIP_vector_typeIjLj3EESB_SB_jSB_SB_SB_SB_SB_SB_iiiiiiiiiiiDpT3_
; %bb.0:
	s_clause 0x1
	s_load_b32 s2, s[0:1], 0xdc
	s_load_b256 s[4:11], s[0:1], 0x38
	s_waitcnt lgkmcnt(0)
	s_and_b32 s2, s2, 0xffff
	s_delay_alu instid0(SALU_CYCLE_1) | instskip(SKIP_3) | instid1(VALU_DEP_1)
	v_mad_u64_u32 v[2:3], null, s15, s2, v[0:1]
	s_clause 0x1
	s_load_b128 s[12:15], s[0:1], 0x18
	s_load_b32 s2, s[0:1], 0x2c
	v_mul_hi_u32 v0, v2, s6
	s_delay_alu instid0(VALU_DEP_1) | instskip(NEXT) | instid1(VALU_DEP_1)
	v_add_nc_u32_e32 v0, v2, v0
	v_lshrrev_b32_e32 v1, s7, v0
	s_delay_alu instid0(VALU_DEP_1) | instskip(NEXT) | instid1(VALU_DEP_1)
	v_mul_lo_u32 v0, v1, s8
	v_sub_nc_u32_e32 v0, v2, v0
	s_delay_alu instid0(VALU_DEP_1) | instskip(NEXT) | instid1(VALU_DEP_1)
	v_mul_hi_u32 v2, v0, s9
	v_add_nc_u32_e32 v2, v0, v2
	s_delay_alu instid0(VALU_DEP_1) | instskip(NEXT) | instid1(VALU_DEP_1)
	v_lshrrev_b32_e32 v2, s10, v2
	v_mul_lo_u32 v3, v2, s11
	v_cmp_gt_u32_e64 s3, s4, v2
	v_cmp_gt_u32_e64 s4, s5, v1
	s_delay_alu instid0(VALU_DEP_3) | instskip(SKIP_1) | instid1(VALU_DEP_1)
	v_sub_nc_u32_e32 v0, v0, v3
	s_waitcnt lgkmcnt(0)
	v_mul_hi_u32 v3, v0, s12
	s_delay_alu instid0(VALU_DEP_1) | instskip(NEXT) | instid1(VALU_DEP_1)
	v_add_nc_u32_e32 v3, v0, v3
	v_lshrrev_b32_e32 v3, s13, v3
	s_delay_alu instid0(VALU_DEP_1) | instskip(SKIP_1) | instid1(VALU_DEP_2)
	v_mul_lo_u32 v4, v3, s14
	v_cmp_gt_u32_e64 s2, s2, v3
	v_sub_nc_u32_e32 v0, v0, v4
	s_delay_alu instid0(VALU_DEP_1) | instskip(NEXT) | instid1(VALU_DEP_3)
	v_cmp_gt_u32_e32 vcc_lo, s14, v0
	s_and_b32 s2, vcc_lo, s2
	s_delay_alu instid0(SALU_CYCLE_1) | instskip(NEXT) | instid1(SALU_CYCLE_1)
	s_and_b32 s2, s2, s3
	s_and_b32 s2, s4, s2
	s_delay_alu instid0(SALU_CYCLE_1)
	s_and_saveexec_b32 s3, s2
	s_cbranch_execz .LBB48_5
; %bb.1:
	s_clause 0x4
	s_load_b64 s[2:3], s[0:1], 0x0
	s_load_b128 s[20:23], s[0:1], 0xa8
	s_load_b256 s[4:11], s[0:1], 0x88
	s_load_b128 s[24:27], s[0:1], 0x78
	s_load_b256 s[12:19], s[0:1], 0x58
	s_waitcnt lgkmcnt(0)
	s_cmp_eq_u64 s[2:3], 0
	s_cbranch_scc1 .LBB48_3
; %bb.2:
	v_mul_lo_u32 v4, v1, s10
	v_mul_lo_u32 v6, v2, s9
	;; [unrolled: 1-line block ×3, first 2 shown]
	v_mov_b32_e32 v5, 0
	s_delay_alu instid0(VALU_DEP_2) | instskip(NEXT) | instid1(VALU_DEP_1)
	v_add3_u32 v4, v6, v4, v7
	v_lshlrev_b64 v[6:7], 2, v[4:5]
	v_mul_lo_u32 v4, v0, s7
	s_delay_alu instid0(VALU_DEP_2) | instskip(NEXT) | instid1(VALU_DEP_3)
	v_add_co_u32 v6, vcc_lo, s2, v6
	v_add_co_ci_u32_e32 v7, vcc_lo, s3, v7, vcc_lo
	s_delay_alu instid0(VALU_DEP_3) | instskip(NEXT) | instid1(VALU_DEP_1)
	v_lshlrev_b64 v[4:5], 2, v[4:5]
	v_add_co_u32 v4, vcc_lo, v6, v4
	s_delay_alu instid0(VALU_DEP_2)
	v_add_co_ci_u32_e32 v5, vcc_lo, v7, v5, vcc_lo
	global_load_b32 v4, v[4:5], off
	s_branch .LBB48_4
.LBB48_3:
	v_mov_b32_e32 v4, 0
.LBB48_4:
	v_mul_hi_u32 v5, s25, v1
	v_mul_hi_u32 v6, s18, v2
	;; [unrolled: 1-line block ×4, first 2 shown]
	s_load_b64 s[2:3], s[0:1], 0xc8
	s_delay_alu instid0(VALU_DEP_4) | instskip(NEXT) | instid1(VALU_DEP_4)
	v_add_nc_u32_e32 v5, v1, v5
	v_add_nc_u32_e32 v6, v2, v6
	s_delay_alu instid0(VALU_DEP_4) | instskip(NEXT) | instid1(VALU_DEP_4)
	v_add_nc_u32_e32 v7, v3, v7
	v_add_nc_u32_e32 v8, v0, v8
	s_delay_alu instid0(VALU_DEP_4) | instskip(NEXT) | instid1(VALU_DEP_4)
	v_lshrrev_b32_e32 v5, s26, v5
	v_lshrrev_b32_e32 v6, s19, v6
	s_delay_alu instid0(VALU_DEP_4) | instskip(NEXT) | instid1(VALU_DEP_4)
	v_lshrrev_b32_e32 v7, s16, v7
	v_lshrrev_b32_e32 v8, s13, v8
	s_delay_alu instid0(VALU_DEP_4) | instskip(NEXT) | instid1(VALU_DEP_4)
	v_mul_lo_u32 v5, v5, s27
	v_mul_lo_u32 v6, v6, s24
	s_delay_alu instid0(VALU_DEP_4) | instskip(NEXT) | instid1(VALU_DEP_4)
	v_mul_lo_u32 v7, v7, s17
	v_mul_lo_u32 v8, v8, s14
	s_delay_alu instid0(VALU_DEP_4) | instskip(NEXT) | instid1(VALU_DEP_4)
	v_sub_nc_u32_e32 v5, v1, v5
	v_sub_nc_u32_e32 v6, v2, v6
	s_delay_alu instid0(VALU_DEP_4) | instskip(NEXT) | instid1(VALU_DEP_4)
	v_sub_nc_u32_e32 v7, v3, v7
	v_sub_nc_u32_e32 v8, v0, v8
	v_mul_lo_u32 v1, v1, s6
	v_mul_lo_u32 v5, v5, s22
	v_mul_lo_u32 v6, v6, s21
	v_mul_lo_u32 v7, v7, s20
	v_mul_lo_u32 v8, v8, s11
	s_clause 0x1
	s_load_b128 s[8:11], s[0:1], 0xb8
	s_load_b64 s[0:1], s[0:1], 0x10
	v_mul_lo_u32 v2, v2, s5
	s_delay_alu instid0(VALU_DEP_3) | instskip(NEXT) | instid1(VALU_DEP_3)
	v_add3_u32 v5, v6, v5, v7
	v_ashrrev_i32_e32 v6, 31, v8
	s_delay_alu instid0(VALU_DEP_2) | instskip(SKIP_1) | instid1(VALU_DEP_2)
	v_ashrrev_i32_e32 v7, 31, v5
	v_add_co_u32 v5, vcc_lo, v8, v5
	v_add_co_ci_u32_e32 v6, vcc_lo, v6, v7, vcc_lo
	s_delay_alu instid0(VALU_DEP_1) | instskip(SKIP_1) | instid1(VALU_DEP_1)
	v_lshlrev_b64 v[5:6], 2, v[5:6]
	s_waitcnt lgkmcnt(0)
	v_add_co_u32 v7, vcc_lo, s8, v5
	s_delay_alu instid0(VALU_DEP_2)
	v_add_co_ci_u32_e32 v8, vcc_lo, s9, v6, vcc_lo
	v_add_co_u32 v9, vcc_lo, s10, v5
	v_add_co_ci_u32_e32 v10, vcc_lo, s11, v6, vcc_lo
	global_load_b32 v7, v[7:8], off
	v_add_co_u32 v5, vcc_lo, s2, v5
	v_add_co_ci_u32_e32 v6, vcc_lo, s3, v6, vcc_lo
	global_load_b32 v8, v[9:10], off
	global_load_b32 v5, v[5:6], off
	v_mul_lo_u32 v6, v3, s4
	v_mov_b32_e32 v3, 0
	s_delay_alu instid0(VALU_DEP_2) | instskip(NEXT) | instid1(VALU_DEP_2)
	v_add3_u32 v2, v2, v1, v6
	v_mov_b32_e32 v1, v3
	s_delay_alu instid0(VALU_DEP_2) | instskip(NEXT) | instid1(VALU_DEP_2)
	v_lshlrev_b64 v[2:3], 2, v[2:3]
	v_lshlrev_b64 v[0:1], 2, v[0:1]
	s_delay_alu instid0(VALU_DEP_2) | instskip(NEXT) | instid1(VALU_DEP_3)
	v_add_co_u32 v2, vcc_lo, s0, v2
	v_add_co_ci_u32_e32 v3, vcc_lo, s1, v3, vcc_lo
	s_delay_alu instid0(VALU_DEP_2) | instskip(NEXT) | instid1(VALU_DEP_2)
	v_add_co_u32 v0, vcc_lo, v2, v0
	v_add_co_ci_u32_e32 v1, vcc_lo, v3, v1, vcc_lo
	s_waitcnt vmcnt(2)
	v_add_f32_e32 v4, v4, v7
	s_waitcnt vmcnt(1)
	s_delay_alu instid0(VALU_DEP_1) | instskip(SKIP_1) | instid1(VALU_DEP_1)
	v_add_f32_e32 v4, v4, v8
	s_waitcnt vmcnt(0)
	v_add_f32_e32 v4, v4, v5
	global_store_b32 v[0:1], v4, off
.LBB48_5:
	s_nop 0
	s_sendmsg sendmsg(MSG_DEALLOC_VGPRS)
	s_endpgm
	.section	.rodata,"a",@progbits
	.p2align	6, 0x0
	.amdhsa_kernel _ZL19k_bin_bcast_unravelIXadL_ZL6op_addffEEfffJPKfS1_S1_EEvPKT0_PKT1_PT2_15HIP_vector_typeIjLj3EESB_SB_jSB_SB_SB_SB_SB_SB_iiiiiiiiiiiDpT3_
		.amdhsa_group_segment_fixed_size 0
		.amdhsa_private_segment_fixed_size 0
		.amdhsa_kernarg_size 464
		.amdhsa_user_sgpr_count 15
		.amdhsa_user_sgpr_dispatch_ptr 0
		.amdhsa_user_sgpr_queue_ptr 0
		.amdhsa_user_sgpr_kernarg_segment_ptr 1
		.amdhsa_user_sgpr_dispatch_id 0
		.amdhsa_user_sgpr_private_segment_size 0
		.amdhsa_wavefront_size32 1
		.amdhsa_uses_dynamic_stack 0
		.amdhsa_enable_private_segment 0
		.amdhsa_system_sgpr_workgroup_id_x 1
		.amdhsa_system_sgpr_workgroup_id_y 0
		.amdhsa_system_sgpr_workgroup_id_z 0
		.amdhsa_system_sgpr_workgroup_info 0
		.amdhsa_system_vgpr_workitem_id 0
		.amdhsa_next_free_vgpr 11
		.amdhsa_next_free_sgpr 28
		.amdhsa_reserve_vcc 1
		.amdhsa_float_round_mode_32 0
		.amdhsa_float_round_mode_16_64 0
		.amdhsa_float_denorm_mode_32 3
		.amdhsa_float_denorm_mode_16_64 3
		.amdhsa_dx10_clamp 1
		.amdhsa_ieee_mode 1
		.amdhsa_fp16_overflow 0
		.amdhsa_workgroup_processor_mode 1
		.amdhsa_memory_ordered 1
		.amdhsa_forward_progress 0
		.amdhsa_shared_vgpr_count 0
		.amdhsa_exception_fp_ieee_invalid_op 0
		.amdhsa_exception_fp_denorm_src 0
		.amdhsa_exception_fp_ieee_div_zero 0
		.amdhsa_exception_fp_ieee_overflow 0
		.amdhsa_exception_fp_ieee_underflow 0
		.amdhsa_exception_fp_ieee_inexact 0
		.amdhsa_exception_int_div_zero 0
	.end_amdhsa_kernel
	.section	.text._ZL19k_bin_bcast_unravelIXadL_ZL6op_addffEEfffJPKfS1_S1_EEvPKT0_PKT1_PT2_15HIP_vector_typeIjLj3EESB_SB_jSB_SB_SB_SB_SB_SB_iiiiiiiiiiiDpT3_,"axG",@progbits,_ZL19k_bin_bcast_unravelIXadL_ZL6op_addffEEfffJPKfS1_S1_EEvPKT0_PKT1_PT2_15HIP_vector_typeIjLj3EESB_SB_jSB_SB_SB_SB_SB_SB_iiiiiiiiiiiDpT3_,comdat
.Lfunc_end48:
	.size	_ZL19k_bin_bcast_unravelIXadL_ZL6op_addffEEfffJPKfS1_S1_EEvPKT0_PKT1_PT2_15HIP_vector_typeIjLj3EESB_SB_jSB_SB_SB_SB_SB_SB_iiiiiiiiiiiDpT3_, .Lfunc_end48-_ZL19k_bin_bcast_unravelIXadL_ZL6op_addffEEfffJPKfS1_S1_EEvPKT0_PKT1_PT2_15HIP_vector_typeIjLj3EESB_SB_jSB_SB_SB_SB_SB_SB_iiiiiiiiiiiDpT3_
                                        ; -- End function
	.section	.AMDGPU.csdata,"",@progbits
; Kernel info:
; codeLenInByte = 876
; NumSgprs: 30
; NumVgprs: 11
; ScratchSize: 0
; MemoryBound: 0
; FloatMode: 240
; IeeeMode: 1
; LDSByteSize: 0 bytes/workgroup (compile time only)
; SGPRBlocks: 3
; VGPRBlocks: 1
; NumSGPRsForWavesPerEU: 30
; NumVGPRsForWavesPerEU: 11
; Occupancy: 16
; WaveLimiterHint : 1
; COMPUTE_PGM_RSRC2:SCRATCH_EN: 0
; COMPUTE_PGM_RSRC2:USER_SGPR: 15
; COMPUTE_PGM_RSRC2:TRAP_HANDLER: 0
; COMPUTE_PGM_RSRC2:TGID_X_EN: 1
; COMPUTE_PGM_RSRC2:TGID_Y_EN: 0
; COMPUTE_PGM_RSRC2:TGID_Z_EN: 0
; COMPUTE_PGM_RSRC2:TIDIG_COMP_CNT: 0
	.section	.text._ZL11k_bin_bcastIXadL_ZL6op_addffEEfffJPKfS1_S1_EEvPKT0_PKT1_PT2_iii15HIP_vector_typeIjLj3EESB_SB_SB_SB_iiiiiiiiiiiDpT3_,"axG",@progbits,_ZL11k_bin_bcastIXadL_ZL6op_addffEEfffJPKfS1_S1_EEvPKT0_PKT1_PT2_iii15HIP_vector_typeIjLj3EESB_SB_SB_SB_iiiiiiiiiiiDpT3_,comdat
	.globl	_ZL11k_bin_bcastIXadL_ZL6op_addffEEfffJPKfS1_S1_EEvPKT0_PKT1_PT2_iii15HIP_vector_typeIjLj3EESB_SB_SB_SB_iiiiiiiiiiiDpT3_ ; -- Begin function _ZL11k_bin_bcastIXadL_ZL6op_addffEEfffJPKfS1_S1_EEvPKT0_PKT1_PT2_iii15HIP_vector_typeIjLj3EESB_SB_SB_SB_iiiiiiiiiiiDpT3_
	.p2align	8
	.type	_ZL11k_bin_bcastIXadL_ZL6op_addffEEfffJPKfS1_S1_EEvPKT0_PKT1_PT2_iii15HIP_vector_typeIjLj3EESB_SB_SB_SB_iiiiiiiiiiiDpT3_,@function
_ZL11k_bin_bcastIXadL_ZL6op_addffEEfffJPKfS1_S1_EEvPKT0_PKT1_PT2_iii15HIP_vector_typeIjLj3EESB_SB_SB_SB_iiiiiiiiiiiDpT3_: ; @_ZL11k_bin_bcastIXadL_ZL6op_addffEEfffJPKfS1_S1_EEvPKT0_PKT1_PT2_iii15HIP_vector_typeIjLj3EESB_SB_SB_SB_iiiiiiiiiiiDpT3_
; %bb.0:
	s_clause 0x1
	s_load_b64 s[2:3], s[0:1], 0xb4
	s_load_b256 s[16:23], s[0:1], 0x18
	v_bfe_u32 v1, v0, 20, 10
	s_add_u32 s34, s0, 0xa8
	s_addc_u32 s35, s1, 0
	s_waitcnt lgkmcnt(0)
	s_and_b32 s3, s3, 0xffff
	s_and_b32 s12, s2, 0xffff
	v_mad_u64_u32 v[4:5], null, s15, s3, v[1:2]
	v_and_b32_e32 v2, 0x3ff, v0
	v_bfe_u32 v5, v0, 10, 10
	s_lshr_b32 s3, s2, 16
	s_delay_alu instid0(VALU_DEP_3) | instskip(NEXT) | instid1(VALU_DEP_1)
	v_mul_hi_u32 v1, v4, s19
	v_add_nc_u32_e32 v1, v4, v1
	s_delay_alu instid0(VALU_DEP_1) | instskip(NEXT) | instid1(VALU_DEP_1)
	v_lshrrev_b32_e32 v3, s20, v1
	v_mul_lo_u32 v6, v3, s21
	v_mad_u64_u32 v[0:1], null, s13, s12, v[2:3]
	s_delay_alu instid0(VALU_DEP_2) | instskip(SKIP_1) | instid1(VALU_DEP_3)
	v_mad_u64_u32 v[1:2], null, s14, s3, v[5:6]
	v_sub_nc_u32_e32 v4, v4, v6
	v_cmp_gt_u32_e32 vcc_lo, s16, v0
	v_cmp_gt_u32_e64 s3, s18, v3
	s_delay_alu instid0(VALU_DEP_3) | instskip(SKIP_1) | instid1(VALU_DEP_1)
	v_cmp_gt_u32_e64 s4, s21, v4
	v_cmp_gt_u32_e64 s2, s17, v1
	s_and_b32 s2, vcc_lo, s2
	s_delay_alu instid0(VALU_DEP_3) | instid1(SALU_CYCLE_1)
	s_and_b32 s2, s2, s3
	s_delay_alu instid0(VALU_DEP_2) | instid1(SALU_CYCLE_1)
	s_and_b32 s2, s2, s4
	s_delay_alu instid0(SALU_CYCLE_1)
	s_and_saveexec_b32 s3, s2
	s_cbranch_execz .LBB49_6
; %bb.1:
	v_cmp_gt_i32_e32 vcc_lo, s16, v0
	s_and_b32 exec_lo, exec_lo, vcc_lo
	s_cbranch_execz .LBB49_6
; %bb.2:
	s_clause 0x2
	s_load_b256 s[36:43], s[0:1], 0x3c
	s_load_b256 s[4:11], s[0:1], 0x60
	;; [unrolled: 1-line block ×3, first 2 shown]
	s_load_b32 s13, s[34:35], 0x0
	s_clause 0x1
	s_load_b32 s2, s[0:1], 0x5c
	s_load_b64 s[14:15], s[0:1], 0x0
	s_waitcnt lgkmcnt(0)
	v_mul_hi_u32 v2, s36, v1
	v_mul_hi_u32 v5, s39, v3
	;; [unrolled: 1-line block ×3, first 2 shown]
	v_mul_lo_u32 v9, v4, s10
	v_mul_lo_u32 v10, v3, s9
	;; [unrolled: 1-line block ×3, first 2 shown]
	v_mov_b32_e32 v6, 0
	v_mul_lo_u32 v13, v3, s5
	v_add_nc_u32_e32 v2, v1, v2
	v_add_nc_u32_e32 v5, v3, v5
	s_delay_alu instid0(VALU_DEP_4) | instskip(SKIP_1) | instid1(VALU_DEP_4)
	v_dual_mov_b32 v8, v6 :: v_dual_add_nc_u32 v7, v4, v7
	v_mul_lo_u32 v14, v1, s4
	v_lshrrev_b32_e32 v2, s37, v2
	s_delay_alu instid0(VALU_DEP_4) | instskip(NEXT) | instid1(VALU_DEP_4)
	v_lshrrev_b32_e32 v15, s40, v5
	v_lshrrev_b32_e32 v16, s43, v7
	s_clause 0x1
	s_load_b32 s8, s[0:1], 0x38
	s_load_b64 s[4:5], s[0:1], 0x10
	v_add3_u32 v5, v10, v11, v9
	v_mul_lo_u32 v12, v4, s6
	v_mul_lo_u32 v9, v2, s38
	;; [unrolled: 1-line block ×4, first 2 shown]
	v_lshlrev_b64 v[5:6], 2, v[5:6]
	s_load_b64 s[2:3], s[0:1], 0xa0
	s_cmp_lg_u64 s[14:15], 0
	v_mul_lo_u32 v2, s7, v0
	v_add3_u32 v7, v13, v14, v12
	v_sub_nc_u32_e32 v1, v1, v9
	v_sub_nc_u32_e32 v3, v3, v10
	;; [unrolled: 1-line block ×3, first 2 shown]
	v_add_co_u32 v9, vcc_lo, s14, v5
	v_add_co_ci_u32_e32 v5, vcc_lo, s15, v6, vcc_lo
	v_lshlrev_b64 v[7:8], 2, v[7:8]
	s_delay_alu instid0(VALU_DEP_4)
	v_mul_lo_u32 v10, v4, s26
	v_mul_lo_u32 v3, v3, s25
	;; [unrolled: 1-line block ×3, first 2 shown]
	s_cselect_b32 vcc_lo, -1, 0
	v_cndmask_b32_e32 v5, 0, v5, vcc_lo
	v_cndmask_b32_e32 v4, 0, v9, vcc_lo
	s_waitcnt lgkmcnt(0)
	v_add_co_u32 v6, vcc_lo, s4, v7
	v_add_co_ci_u32_e32 v7, vcc_lo, s5, v8, vcc_lo
	s_delay_alu instid0(VALU_DEP_3)
	v_cmp_ne_u64_e32 vcc_lo, 0, v[4:5]
	v_add3_u32 v8, v3, v10, v1
	s_mul_i32 s4, s13, s12
	s_mov_b32 s5, 0
	s_mul_i32 s6, s4, s7
	s_sub_i32 s7, 0, s8
	s_branch .LBB49_4
.LBB49_3:                               ;   in Loop: Header=BB49_4 Depth=1
	s_or_b32 exec_lo, exec_lo, s1
	v_mul_hi_u32 v1, s22, v0
	v_add_nc_u32_e32 v2, s6, v2
	s_delay_alu instid0(VALU_DEP_2) | instskip(NEXT) | instid1(VALU_DEP_1)
	v_add_nc_u32_e32 v1, v0, v1
	v_lshrrev_b32_e32 v1, s23, v1
	s_delay_alu instid0(VALU_DEP_1) | instskip(NEXT) | instid1(VALU_DEP_1)
	v_mad_u64_u32 v[9:10], null, s7, v1, v[0:1]
	v_mul_lo_u32 v1, v9, s11
	s_delay_alu instid0(VALU_DEP_1) | instskip(NEXT) | instid1(VALU_DEP_1)
	v_add_co_u32 v9, s0, v1, v8
	v_add_co_ci_u32_e64 v10, null, 0, 0, s0
	v_ashrrev_i32_e32 v1, 31, v0
	s_delay_alu instid0(VALU_DEP_2) | instskip(NEXT) | instid1(VALU_DEP_1)
	v_lshlrev_b64 v[9:10], 2, v[9:10]
	v_add_co_u32 v11, s0, s28, v9
	s_delay_alu instid0(VALU_DEP_1) | instskip(SKIP_1) | instid1(VALU_DEP_1)
	v_add_co_ci_u32_e64 v12, s0, s29, v10, s0
	v_add_co_u32 v13, s0, s30, v9
	v_add_co_ci_u32_e64 v14, s0, s31, v10, s0
	global_load_b32 v11, v[11:12], off
	v_add_co_u32 v9, s0, s2, v9
	s_delay_alu instid0(VALU_DEP_1) | instskip(SKIP_4) | instid1(VALU_DEP_1)
	v_add_co_ci_u32_e64 v10, s0, s3, v10, s0
	global_load_b32 v12, v[13:14], off
	global_load_b32 v13, v[9:10], off
	v_lshlrev_b64 v[9:10], 2, v[0:1]
	v_add_nc_u32_e32 v0, s4, v0
	v_cmp_le_i32_e64 s0, s16, v0
	s_delay_alu instid0(VALU_DEP_3) | instskip(NEXT) | instid1(VALU_DEP_1)
	v_add_co_u32 v9, s1, v6, v9
	v_add_co_ci_u32_e64 v10, s1, v7, v10, s1
	s_delay_alu instid0(VALU_DEP_3) | instskip(SKIP_3) | instid1(VALU_DEP_1)
	s_or_b32 s5, s0, s5
	s_waitcnt vmcnt(2)
	v_add_f32_e32 v3, v3, v11
	s_waitcnt vmcnt(1)
	v_add_f32_e32 v1, v3, v12
	s_waitcnt vmcnt(0)
	s_delay_alu instid0(VALU_DEP_1)
	v_add_f32_e32 v1, v1, v13
	global_store_b32 v[9:10], v1, off
	s_and_not1_b32 exec_lo, exec_lo, s5
	s_cbranch_execz .LBB49_6
.LBB49_4:                               ; =>This Inner Loop Header: Depth=1
	v_mov_b32_e32 v3, 0
	s_and_saveexec_b32 s1, vcc_lo
	s_cbranch_execz .LBB49_3
; %bb.5:                                ;   in Loop: Header=BB49_4 Depth=1
	v_ashrrev_i32_e32 v3, 31, v2
	s_delay_alu instid0(VALU_DEP_1) | instskip(NEXT) | instid1(VALU_DEP_1)
	v_lshlrev_b64 v[9:10], 2, v[2:3]
	v_add_co_u32 v9, s0, v4, v9
	s_delay_alu instid0(VALU_DEP_1)
	v_add_co_ci_u32_e64 v10, s0, v5, v10, s0
	global_load_b32 v3, v[9:10], off
	s_branch .LBB49_3
.LBB49_6:
	s_nop 0
	s_sendmsg sendmsg(MSG_DEALLOC_VGPRS)
	s_endpgm
	.section	.rodata,"a",@progbits
	.p2align	6, 0x0
	.amdhsa_kernel _ZL11k_bin_bcastIXadL_ZL6op_addffEEfffJPKfS1_S1_EEvPKT0_PKT1_PT2_iii15HIP_vector_typeIjLj3EESB_SB_SB_SB_iiiiiiiiiiiDpT3_
		.amdhsa_group_segment_fixed_size 0
		.amdhsa_private_segment_fixed_size 0
		.amdhsa_kernarg_size 424
		.amdhsa_user_sgpr_count 13
		.amdhsa_user_sgpr_dispatch_ptr 0
		.amdhsa_user_sgpr_queue_ptr 0
		.amdhsa_user_sgpr_kernarg_segment_ptr 1
		.amdhsa_user_sgpr_dispatch_id 0
		.amdhsa_user_sgpr_private_segment_size 0
		.amdhsa_wavefront_size32 1
		.amdhsa_uses_dynamic_stack 0
		.amdhsa_enable_private_segment 0
		.amdhsa_system_sgpr_workgroup_id_x 1
		.amdhsa_system_sgpr_workgroup_id_y 1
		.amdhsa_system_sgpr_workgroup_id_z 1
		.amdhsa_system_sgpr_workgroup_info 0
		.amdhsa_system_vgpr_workitem_id 2
		.amdhsa_next_free_vgpr 17
		.amdhsa_next_free_sgpr 44
		.amdhsa_reserve_vcc 1
		.amdhsa_float_round_mode_32 0
		.amdhsa_float_round_mode_16_64 0
		.amdhsa_float_denorm_mode_32 3
		.amdhsa_float_denorm_mode_16_64 3
		.amdhsa_dx10_clamp 1
		.amdhsa_ieee_mode 1
		.amdhsa_fp16_overflow 0
		.amdhsa_workgroup_processor_mode 1
		.amdhsa_memory_ordered 1
		.amdhsa_forward_progress 0
		.amdhsa_shared_vgpr_count 0
		.amdhsa_exception_fp_ieee_invalid_op 0
		.amdhsa_exception_fp_denorm_src 0
		.amdhsa_exception_fp_ieee_div_zero 0
		.amdhsa_exception_fp_ieee_overflow 0
		.amdhsa_exception_fp_ieee_underflow 0
		.amdhsa_exception_fp_ieee_inexact 0
		.amdhsa_exception_int_div_zero 0
	.end_amdhsa_kernel
	.section	.text._ZL11k_bin_bcastIXadL_ZL6op_addffEEfffJPKfS1_S1_EEvPKT0_PKT1_PT2_iii15HIP_vector_typeIjLj3EESB_SB_SB_SB_iiiiiiiiiiiDpT3_,"axG",@progbits,_ZL11k_bin_bcastIXadL_ZL6op_addffEEfffJPKfS1_S1_EEvPKT0_PKT1_PT2_iii15HIP_vector_typeIjLj3EESB_SB_SB_SB_iiiiiiiiiiiDpT3_,comdat
.Lfunc_end49:
	.size	_ZL11k_bin_bcastIXadL_ZL6op_addffEEfffJPKfS1_S1_EEvPKT0_PKT1_PT2_iii15HIP_vector_typeIjLj3EESB_SB_SB_SB_iiiiiiiiiiiDpT3_, .Lfunc_end49-_ZL11k_bin_bcastIXadL_ZL6op_addffEEfffJPKfS1_S1_EEvPKT0_PKT1_PT2_iii15HIP_vector_typeIjLj3EESB_SB_SB_SB_iiiiiiiiiiiDpT3_
                                        ; -- End function
	.section	.AMDGPU.csdata,"",@progbits
; Kernel info:
; codeLenInByte = 932
; NumSgprs: 46
; NumVgprs: 17
; ScratchSize: 0
; MemoryBound: 0
; FloatMode: 240
; IeeeMode: 1
; LDSByteSize: 0 bytes/workgroup (compile time only)
; SGPRBlocks: 5
; VGPRBlocks: 2
; NumSGPRsForWavesPerEU: 46
; NumVGPRsForWavesPerEU: 17
; Occupancy: 16
; WaveLimiterHint : 1
; COMPUTE_PGM_RSRC2:SCRATCH_EN: 0
; COMPUTE_PGM_RSRC2:USER_SGPR: 13
; COMPUTE_PGM_RSRC2:TRAP_HANDLER: 0
; COMPUTE_PGM_RSRC2:TGID_X_EN: 1
; COMPUTE_PGM_RSRC2:TGID_Y_EN: 1
; COMPUTE_PGM_RSRC2:TGID_Z_EN: 1
; COMPUTE_PGM_RSRC2:TIDIG_COMP_CNT: 2
	.section	.text._ZL19k_bin_bcast_unravelIXadL_ZL6op_addffEE6__halfS0_S0_JPKS0_S2_S2_EEvPKT0_PKT1_PT2_15HIP_vector_typeIjLj3EESC_SC_jSC_SC_SC_SC_SC_SC_iiiiiiiiiiiDpT3_,"axG",@progbits,_ZL19k_bin_bcast_unravelIXadL_ZL6op_addffEE6__halfS0_S0_JPKS0_S2_S2_EEvPKT0_PKT1_PT2_15HIP_vector_typeIjLj3EESC_SC_jSC_SC_SC_SC_SC_SC_iiiiiiiiiiiDpT3_,comdat
	.globl	_ZL19k_bin_bcast_unravelIXadL_ZL6op_addffEE6__halfS0_S0_JPKS0_S2_S2_EEvPKT0_PKT1_PT2_15HIP_vector_typeIjLj3EESC_SC_jSC_SC_SC_SC_SC_SC_iiiiiiiiiiiDpT3_ ; -- Begin function _ZL19k_bin_bcast_unravelIXadL_ZL6op_addffEE6__halfS0_S0_JPKS0_S2_S2_EEvPKT0_PKT1_PT2_15HIP_vector_typeIjLj3EESC_SC_jSC_SC_SC_SC_SC_SC_iiiiiiiiiiiDpT3_
	.p2align	8
	.type	_ZL19k_bin_bcast_unravelIXadL_ZL6op_addffEE6__halfS0_S0_JPKS0_S2_S2_EEvPKT0_PKT1_PT2_15HIP_vector_typeIjLj3EESC_SC_jSC_SC_SC_SC_SC_SC_iiiiiiiiiiiDpT3_,@function
_ZL19k_bin_bcast_unravelIXadL_ZL6op_addffEE6__halfS0_S0_JPKS0_S2_S2_EEvPKT0_PKT1_PT2_15HIP_vector_typeIjLj3EESC_SC_jSC_SC_SC_SC_SC_SC_iiiiiiiiiiiDpT3_: ; @_ZL19k_bin_bcast_unravelIXadL_ZL6op_addffEE6__halfS0_S0_JPKS0_S2_S2_EEvPKT0_PKT1_PT2_15HIP_vector_typeIjLj3EESC_SC_jSC_SC_SC_SC_SC_SC_iiiiiiiiiiiDpT3_
; %bb.0:
	s_clause 0x1
	s_load_b32 s2, s[0:1], 0xdc
	s_load_b256 s[4:11], s[0:1], 0x38
	s_waitcnt lgkmcnt(0)
	s_and_b32 s2, s2, 0xffff
	s_delay_alu instid0(SALU_CYCLE_1) | instskip(SKIP_3) | instid1(VALU_DEP_1)
	v_mad_u64_u32 v[2:3], null, s15, s2, v[0:1]
	s_clause 0x1
	s_load_b128 s[12:15], s[0:1], 0x18
	s_load_b32 s2, s[0:1], 0x2c
	v_mul_hi_u32 v0, v2, s6
	s_delay_alu instid0(VALU_DEP_1) | instskip(NEXT) | instid1(VALU_DEP_1)
	v_add_nc_u32_e32 v0, v2, v0
	v_lshrrev_b32_e32 v1, s7, v0
	s_delay_alu instid0(VALU_DEP_1) | instskip(NEXT) | instid1(VALU_DEP_1)
	v_mul_lo_u32 v0, v1, s8
	v_sub_nc_u32_e32 v0, v2, v0
	s_delay_alu instid0(VALU_DEP_1) | instskip(NEXT) | instid1(VALU_DEP_1)
	v_mul_hi_u32 v2, v0, s9
	v_add_nc_u32_e32 v2, v0, v2
	s_delay_alu instid0(VALU_DEP_1) | instskip(NEXT) | instid1(VALU_DEP_1)
	v_lshrrev_b32_e32 v2, s10, v2
	v_mul_lo_u32 v3, v2, s11
	v_cmp_gt_u32_e64 s3, s4, v2
	v_cmp_gt_u32_e64 s4, s5, v1
	s_delay_alu instid0(VALU_DEP_3) | instskip(SKIP_1) | instid1(VALU_DEP_1)
	v_sub_nc_u32_e32 v0, v0, v3
	s_waitcnt lgkmcnt(0)
	v_mul_hi_u32 v3, v0, s12
	s_delay_alu instid0(VALU_DEP_1) | instskip(NEXT) | instid1(VALU_DEP_1)
	v_add_nc_u32_e32 v3, v0, v3
	v_lshrrev_b32_e32 v3, s13, v3
	s_delay_alu instid0(VALU_DEP_1) | instskip(SKIP_1) | instid1(VALU_DEP_2)
	v_mul_lo_u32 v4, v3, s14
	v_cmp_gt_u32_e64 s2, s2, v3
	v_sub_nc_u32_e32 v0, v0, v4
	s_delay_alu instid0(VALU_DEP_1) | instskip(NEXT) | instid1(VALU_DEP_3)
	v_cmp_gt_u32_e32 vcc_lo, s14, v0
	s_and_b32 s2, vcc_lo, s2
	s_delay_alu instid0(SALU_CYCLE_1) | instskip(NEXT) | instid1(SALU_CYCLE_1)
	s_and_b32 s2, s2, s3
	s_and_b32 s2, s4, s2
	s_delay_alu instid0(SALU_CYCLE_1)
	s_and_saveexec_b32 s3, s2
	s_cbranch_execz .LBB50_5
; %bb.1:
	s_clause 0x4
	s_load_b64 s[2:3], s[0:1], 0x0
	s_load_b128 s[20:23], s[0:1], 0xa8
	s_load_b256 s[4:11], s[0:1], 0x88
	s_load_b128 s[24:27], s[0:1], 0x78
	s_load_b256 s[12:19], s[0:1], 0x58
	s_waitcnt lgkmcnt(0)
	s_cmp_eq_u64 s[2:3], 0
	s_cbranch_scc1 .LBB50_3
; %bb.2:
	v_mul_lo_u32 v4, v1, s10
	v_mul_lo_u32 v6, v2, s9
	;; [unrolled: 1-line block ×3, first 2 shown]
	v_mov_b32_e32 v5, 0
	s_delay_alu instid0(VALU_DEP_2) | instskip(NEXT) | instid1(VALU_DEP_1)
	v_add3_u32 v4, v6, v4, v7
	v_lshlrev_b64 v[6:7], 1, v[4:5]
	v_mul_lo_u32 v4, v0, s7
	s_delay_alu instid0(VALU_DEP_2) | instskip(NEXT) | instid1(VALU_DEP_3)
	v_add_co_u32 v6, vcc_lo, s2, v6
	v_add_co_ci_u32_e32 v7, vcc_lo, s3, v7, vcc_lo
	s_delay_alu instid0(VALU_DEP_3) | instskip(NEXT) | instid1(VALU_DEP_1)
	v_lshlrev_b64 v[4:5], 1, v[4:5]
	v_add_co_u32 v4, vcc_lo, v6, v4
	s_delay_alu instid0(VALU_DEP_2)
	v_add_co_ci_u32_e32 v5, vcc_lo, v7, v5, vcc_lo
	global_load_u16 v4, v[4:5], off
	s_waitcnt vmcnt(0)
	v_cvt_f32_f16_e32 v4, v4
	s_branch .LBB50_4
.LBB50_3:
	v_mov_b32_e32 v4, 0
.LBB50_4:
	v_mul_hi_u32 v5, s25, v1
	v_mul_hi_u32 v6, s18, v2
	;; [unrolled: 1-line block ×4, first 2 shown]
	s_load_b64 s[2:3], s[0:1], 0xc8
	s_delay_alu instid0(VALU_DEP_4) | instskip(NEXT) | instid1(VALU_DEP_4)
	v_add_nc_u32_e32 v5, v1, v5
	v_add_nc_u32_e32 v6, v2, v6
	s_delay_alu instid0(VALU_DEP_4) | instskip(NEXT) | instid1(VALU_DEP_4)
	v_add_nc_u32_e32 v7, v3, v7
	v_add_nc_u32_e32 v8, v0, v8
	s_delay_alu instid0(VALU_DEP_4) | instskip(NEXT) | instid1(VALU_DEP_4)
	v_lshrrev_b32_e32 v5, s26, v5
	v_lshrrev_b32_e32 v6, s19, v6
	s_delay_alu instid0(VALU_DEP_4) | instskip(NEXT) | instid1(VALU_DEP_4)
	v_lshrrev_b32_e32 v7, s16, v7
	v_lshrrev_b32_e32 v8, s13, v8
	s_delay_alu instid0(VALU_DEP_4) | instskip(NEXT) | instid1(VALU_DEP_4)
	v_mul_lo_u32 v5, v5, s27
	v_mul_lo_u32 v6, v6, s24
	s_delay_alu instid0(VALU_DEP_4) | instskip(NEXT) | instid1(VALU_DEP_4)
	v_mul_lo_u32 v7, v7, s17
	v_mul_lo_u32 v8, v8, s14
	s_delay_alu instid0(VALU_DEP_4) | instskip(NEXT) | instid1(VALU_DEP_4)
	v_sub_nc_u32_e32 v5, v1, v5
	v_sub_nc_u32_e32 v6, v2, v6
	s_delay_alu instid0(VALU_DEP_4) | instskip(NEXT) | instid1(VALU_DEP_4)
	v_sub_nc_u32_e32 v7, v3, v7
	v_sub_nc_u32_e32 v8, v0, v8
	v_mul_lo_u32 v1, v1, s6
	v_mul_lo_u32 v5, v5, s22
	;; [unrolled: 1-line block ×5, first 2 shown]
	s_clause 0x1
	s_load_b128 s[8:11], s[0:1], 0xb8
	s_load_b64 s[0:1], s[0:1], 0x10
	v_mul_lo_u32 v2, v2, s5
	s_delay_alu instid0(VALU_DEP_3) | instskip(NEXT) | instid1(VALU_DEP_3)
	v_add3_u32 v5, v6, v5, v7
	v_ashrrev_i32_e32 v6, 31, v8
	s_delay_alu instid0(VALU_DEP_2) | instskip(SKIP_1) | instid1(VALU_DEP_2)
	v_ashrrev_i32_e32 v7, 31, v5
	v_add_co_u32 v5, vcc_lo, v8, v5
	v_add_co_ci_u32_e32 v6, vcc_lo, v6, v7, vcc_lo
	s_delay_alu instid0(VALU_DEP_1) | instskip(SKIP_1) | instid1(VALU_DEP_1)
	v_lshlrev_b64 v[5:6], 1, v[5:6]
	s_waitcnt lgkmcnt(0)
	v_add_co_u32 v7, vcc_lo, s8, v5
	s_delay_alu instid0(VALU_DEP_2)
	v_add_co_ci_u32_e32 v8, vcc_lo, s9, v6, vcc_lo
	v_add_co_u32 v9, vcc_lo, s10, v5
	v_add_co_ci_u32_e32 v10, vcc_lo, s11, v6, vcc_lo
	global_load_u16 v7, v[7:8], off
	v_add_co_u32 v5, vcc_lo, s2, v5
	v_add_co_ci_u32_e32 v6, vcc_lo, s3, v6, vcc_lo
	global_load_u16 v8, v[9:10], off
	global_load_u16 v5, v[5:6], off
	v_mul_lo_u32 v6, v3, s4
	v_mov_b32_e32 v3, 0
	s_delay_alu instid0(VALU_DEP_2) | instskip(NEXT) | instid1(VALU_DEP_2)
	v_add3_u32 v2, v2, v1, v6
	v_mov_b32_e32 v1, v3
	s_delay_alu instid0(VALU_DEP_2) | instskip(NEXT) | instid1(VALU_DEP_2)
	v_lshlrev_b64 v[2:3], 1, v[2:3]
	v_lshlrev_b64 v[0:1], 1, v[0:1]
	s_delay_alu instid0(VALU_DEP_2) | instskip(NEXT) | instid1(VALU_DEP_3)
	v_add_co_u32 v2, vcc_lo, s0, v2
	v_add_co_ci_u32_e32 v3, vcc_lo, s1, v3, vcc_lo
	s_delay_alu instid0(VALU_DEP_2) | instskip(NEXT) | instid1(VALU_DEP_2)
	v_add_co_u32 v0, vcc_lo, v2, v0
	v_add_co_ci_u32_e32 v1, vcc_lo, v3, v1, vcc_lo
	s_waitcnt vmcnt(2)
	v_cvt_f32_f16_e32 v7, v7
	s_delay_alu instid0(VALU_DEP_1) | instskip(SKIP_4) | instid1(VALU_DEP_2)
	v_add_f32_e32 v4, v4, v7
	s_waitcnt vmcnt(1)
	v_cvt_f32_f16_e32 v8, v8
	s_waitcnt vmcnt(0)
	v_cvt_f32_f16_e32 v5, v5
	v_add_f32_e32 v4, v4, v8
	s_delay_alu instid0(VALU_DEP_1) | instskip(NEXT) | instid1(VALU_DEP_1)
	v_add_f32_e32 v4, v4, v5
	v_cvt_f16_f32_e32 v4, v4
	global_store_b16 v[0:1], v4, off
.LBB50_5:
	s_nop 0
	s_sendmsg sendmsg(MSG_DEALLOC_VGPRS)
	s_endpgm
	.section	.rodata,"a",@progbits
	.p2align	6, 0x0
	.amdhsa_kernel _ZL19k_bin_bcast_unravelIXadL_ZL6op_addffEE6__halfS0_S0_JPKS0_S2_S2_EEvPKT0_PKT1_PT2_15HIP_vector_typeIjLj3EESC_SC_jSC_SC_SC_SC_SC_SC_iiiiiiiiiiiDpT3_
		.amdhsa_group_segment_fixed_size 0
		.amdhsa_private_segment_fixed_size 0
		.amdhsa_kernarg_size 464
		.amdhsa_user_sgpr_count 15
		.amdhsa_user_sgpr_dispatch_ptr 0
		.amdhsa_user_sgpr_queue_ptr 0
		.amdhsa_user_sgpr_kernarg_segment_ptr 1
		.amdhsa_user_sgpr_dispatch_id 0
		.amdhsa_user_sgpr_private_segment_size 0
		.amdhsa_wavefront_size32 1
		.amdhsa_uses_dynamic_stack 0
		.amdhsa_enable_private_segment 0
		.amdhsa_system_sgpr_workgroup_id_x 1
		.amdhsa_system_sgpr_workgroup_id_y 0
		.amdhsa_system_sgpr_workgroup_id_z 0
		.amdhsa_system_sgpr_workgroup_info 0
		.amdhsa_system_vgpr_workitem_id 0
		.amdhsa_next_free_vgpr 11
		.amdhsa_next_free_sgpr 28
		.amdhsa_reserve_vcc 1
		.amdhsa_float_round_mode_32 0
		.amdhsa_float_round_mode_16_64 0
		.amdhsa_float_denorm_mode_32 3
		.amdhsa_float_denorm_mode_16_64 3
		.amdhsa_dx10_clamp 1
		.amdhsa_ieee_mode 1
		.amdhsa_fp16_overflow 0
		.amdhsa_workgroup_processor_mode 1
		.amdhsa_memory_ordered 1
		.amdhsa_forward_progress 0
		.amdhsa_shared_vgpr_count 0
		.amdhsa_exception_fp_ieee_invalid_op 0
		.amdhsa_exception_fp_denorm_src 0
		.amdhsa_exception_fp_ieee_div_zero 0
		.amdhsa_exception_fp_ieee_overflow 0
		.amdhsa_exception_fp_ieee_underflow 0
		.amdhsa_exception_fp_ieee_inexact 0
		.amdhsa_exception_int_div_zero 0
	.end_amdhsa_kernel
	.section	.text._ZL19k_bin_bcast_unravelIXadL_ZL6op_addffEE6__halfS0_S0_JPKS0_S2_S2_EEvPKT0_PKT1_PT2_15HIP_vector_typeIjLj3EESC_SC_jSC_SC_SC_SC_SC_SC_iiiiiiiiiiiDpT3_,"axG",@progbits,_ZL19k_bin_bcast_unravelIXadL_ZL6op_addffEE6__halfS0_S0_JPKS0_S2_S2_EEvPKT0_PKT1_PT2_15HIP_vector_typeIjLj3EESC_SC_jSC_SC_SC_SC_SC_SC_iiiiiiiiiiiDpT3_,comdat
.Lfunc_end50:
	.size	_ZL19k_bin_bcast_unravelIXadL_ZL6op_addffEE6__halfS0_S0_JPKS0_S2_S2_EEvPKT0_PKT1_PT2_15HIP_vector_typeIjLj3EESC_SC_jSC_SC_SC_SC_SC_SC_iiiiiiiiiiiDpT3_, .Lfunc_end50-_ZL19k_bin_bcast_unravelIXadL_ZL6op_addffEE6__halfS0_S0_JPKS0_S2_S2_EEvPKT0_PKT1_PT2_15HIP_vector_typeIjLj3EESC_SC_jSC_SC_SC_SC_SC_SC_iiiiiiiiiiiDpT3_
                                        ; -- End function
	.section	.AMDGPU.csdata,"",@progbits
; Kernel info:
; codeLenInByte = 904
; NumSgprs: 30
; NumVgprs: 11
; ScratchSize: 0
; MemoryBound: 0
; FloatMode: 240
; IeeeMode: 1
; LDSByteSize: 0 bytes/workgroup (compile time only)
; SGPRBlocks: 3
; VGPRBlocks: 1
; NumSGPRsForWavesPerEU: 30
; NumVGPRsForWavesPerEU: 11
; Occupancy: 16
; WaveLimiterHint : 1
; COMPUTE_PGM_RSRC2:SCRATCH_EN: 0
; COMPUTE_PGM_RSRC2:USER_SGPR: 15
; COMPUTE_PGM_RSRC2:TRAP_HANDLER: 0
; COMPUTE_PGM_RSRC2:TGID_X_EN: 1
; COMPUTE_PGM_RSRC2:TGID_Y_EN: 0
; COMPUTE_PGM_RSRC2:TGID_Z_EN: 0
; COMPUTE_PGM_RSRC2:TIDIG_COMP_CNT: 0
	.section	.text._ZL11k_bin_bcastIXadL_ZL6op_addffEE6__halfS0_S0_JPKS0_S2_S2_EEvPKT0_PKT1_PT2_iii15HIP_vector_typeIjLj3EESC_SC_SC_SC_iiiiiiiiiiiDpT3_,"axG",@progbits,_ZL11k_bin_bcastIXadL_ZL6op_addffEE6__halfS0_S0_JPKS0_S2_S2_EEvPKT0_PKT1_PT2_iii15HIP_vector_typeIjLj3EESC_SC_SC_SC_iiiiiiiiiiiDpT3_,comdat
	.globl	_ZL11k_bin_bcastIXadL_ZL6op_addffEE6__halfS0_S0_JPKS0_S2_S2_EEvPKT0_PKT1_PT2_iii15HIP_vector_typeIjLj3EESC_SC_SC_SC_iiiiiiiiiiiDpT3_ ; -- Begin function _ZL11k_bin_bcastIXadL_ZL6op_addffEE6__halfS0_S0_JPKS0_S2_S2_EEvPKT0_PKT1_PT2_iii15HIP_vector_typeIjLj3EESC_SC_SC_SC_iiiiiiiiiiiDpT3_
	.p2align	8
	.type	_ZL11k_bin_bcastIXadL_ZL6op_addffEE6__halfS0_S0_JPKS0_S2_S2_EEvPKT0_PKT1_PT2_iii15HIP_vector_typeIjLj3EESC_SC_SC_SC_iiiiiiiiiiiDpT3_,@function
_ZL11k_bin_bcastIXadL_ZL6op_addffEE6__halfS0_S0_JPKS0_S2_S2_EEvPKT0_PKT1_PT2_iii15HIP_vector_typeIjLj3EESC_SC_SC_SC_iiiiiiiiiiiDpT3_: ; @_ZL11k_bin_bcastIXadL_ZL6op_addffEE6__halfS0_S0_JPKS0_S2_S2_EEvPKT0_PKT1_PT2_iii15HIP_vector_typeIjLj3EESC_SC_SC_SC_iiiiiiiiiiiDpT3_
; %bb.0:
	s_clause 0x1
	s_load_b64 s[2:3], s[0:1], 0xb4
	s_load_b256 s[16:23], s[0:1], 0x18
	v_bfe_u32 v1, v0, 20, 10
	s_add_u32 s34, s0, 0xa8
	s_addc_u32 s35, s1, 0
	s_waitcnt lgkmcnt(0)
	s_and_b32 s3, s3, 0xffff
	s_and_b32 s12, s2, 0xffff
	v_mad_u64_u32 v[4:5], null, s15, s3, v[1:2]
	v_and_b32_e32 v2, 0x3ff, v0
	v_bfe_u32 v5, v0, 10, 10
	s_lshr_b32 s3, s2, 16
	s_delay_alu instid0(VALU_DEP_3) | instskip(NEXT) | instid1(VALU_DEP_1)
	v_mul_hi_u32 v1, v4, s19
	v_add_nc_u32_e32 v1, v4, v1
	s_delay_alu instid0(VALU_DEP_1) | instskip(NEXT) | instid1(VALU_DEP_1)
	v_lshrrev_b32_e32 v3, s20, v1
	v_mul_lo_u32 v6, v3, s21
	v_mad_u64_u32 v[0:1], null, s13, s12, v[2:3]
	s_delay_alu instid0(VALU_DEP_2) | instskip(SKIP_1) | instid1(VALU_DEP_3)
	v_mad_u64_u32 v[1:2], null, s14, s3, v[5:6]
	v_sub_nc_u32_e32 v4, v4, v6
	v_cmp_gt_u32_e32 vcc_lo, s16, v0
	v_cmp_gt_u32_e64 s3, s18, v3
	s_delay_alu instid0(VALU_DEP_3) | instskip(SKIP_1) | instid1(VALU_DEP_1)
	v_cmp_gt_u32_e64 s4, s21, v4
	v_cmp_gt_u32_e64 s2, s17, v1
	s_and_b32 s2, vcc_lo, s2
	s_delay_alu instid0(VALU_DEP_3) | instid1(SALU_CYCLE_1)
	s_and_b32 s2, s2, s3
	s_delay_alu instid0(VALU_DEP_2) | instid1(SALU_CYCLE_1)
	s_and_b32 s2, s2, s4
	s_delay_alu instid0(SALU_CYCLE_1)
	s_and_saveexec_b32 s3, s2
	s_cbranch_execz .LBB51_6
; %bb.1:
	v_cmp_gt_i32_e32 vcc_lo, s16, v0
	s_and_b32 exec_lo, exec_lo, vcc_lo
	s_cbranch_execz .LBB51_6
; %bb.2:
	s_clause 0x2
	s_load_b256 s[36:43], s[0:1], 0x3c
	s_load_b256 s[4:11], s[0:1], 0x60
	;; [unrolled: 1-line block ×3, first 2 shown]
	s_load_b32 s13, s[34:35], 0x0
	s_clause 0x1
	s_load_b32 s2, s[0:1], 0x5c
	s_load_b64 s[14:15], s[0:1], 0x0
	s_waitcnt lgkmcnt(0)
	v_mul_hi_u32 v2, s36, v1
	v_mul_hi_u32 v5, s39, v3
	;; [unrolled: 1-line block ×3, first 2 shown]
	v_mul_lo_u32 v9, v4, s10
	v_mul_lo_u32 v10, v3, s9
	;; [unrolled: 1-line block ×3, first 2 shown]
	v_mov_b32_e32 v6, 0
	v_mul_lo_u32 v13, v3, s5
	v_add_nc_u32_e32 v2, v1, v2
	v_add_nc_u32_e32 v5, v3, v5
	s_delay_alu instid0(VALU_DEP_4) | instskip(SKIP_1) | instid1(VALU_DEP_4)
	v_dual_mov_b32 v8, v6 :: v_dual_add_nc_u32 v7, v4, v7
	v_mul_lo_u32 v14, v1, s4
	v_lshrrev_b32_e32 v2, s37, v2
	s_delay_alu instid0(VALU_DEP_4) | instskip(NEXT) | instid1(VALU_DEP_4)
	v_lshrrev_b32_e32 v15, s40, v5
	v_lshrrev_b32_e32 v16, s43, v7
	s_clause 0x1
	s_load_b32 s8, s[0:1], 0x38
	s_load_b64 s[4:5], s[0:1], 0x10
	v_add3_u32 v5, v10, v11, v9
	v_mul_lo_u32 v12, v4, s6
	v_mul_lo_u32 v9, v2, s38
	;; [unrolled: 1-line block ×4, first 2 shown]
	v_lshlrev_b64 v[5:6], 1, v[5:6]
	s_load_b64 s[2:3], s[0:1], 0xa0
	s_cmp_lg_u64 s[14:15], 0
	v_mul_lo_u32 v2, s7, v0
	v_add3_u32 v7, v13, v14, v12
	v_sub_nc_u32_e32 v1, v1, v9
	v_sub_nc_u32_e32 v3, v3, v10
	;; [unrolled: 1-line block ×3, first 2 shown]
	v_add_co_u32 v9, vcc_lo, s14, v5
	v_add_co_ci_u32_e32 v5, vcc_lo, s15, v6, vcc_lo
	v_lshlrev_b64 v[7:8], 1, v[7:8]
	s_delay_alu instid0(VALU_DEP_4)
	v_mul_lo_u32 v10, v4, s26
	v_mul_lo_u32 v3, v3, s25
	;; [unrolled: 1-line block ×3, first 2 shown]
	s_cselect_b32 vcc_lo, -1, 0
	v_cndmask_b32_e32 v5, 0, v5, vcc_lo
	v_cndmask_b32_e32 v4, 0, v9, vcc_lo
	s_waitcnt lgkmcnt(0)
	v_add_co_u32 v6, vcc_lo, s4, v7
	v_add_co_ci_u32_e32 v7, vcc_lo, s5, v8, vcc_lo
	s_delay_alu instid0(VALU_DEP_3)
	v_cmp_ne_u64_e32 vcc_lo, 0, v[4:5]
	v_add3_u32 v8, v3, v10, v1
	s_mul_i32 s4, s13, s12
	s_mov_b32 s5, 0
	s_mul_i32 s6, s4, s7
	s_sub_i32 s7, 0, s8
	s_branch .LBB51_4
.LBB51_3:                               ;   in Loop: Header=BB51_4 Depth=1
	s_or_b32 exec_lo, exec_lo, s1
	v_mul_hi_u32 v3, s22, v0
	v_add_nc_u32_e32 v2, s6, v2
	s_delay_alu instid0(VALU_DEP_2) | instskip(NEXT) | instid1(VALU_DEP_1)
	v_add_nc_u32_e32 v3, v0, v3
	v_lshrrev_b32_e32 v3, s23, v3
	s_delay_alu instid0(VALU_DEP_1) | instskip(NEXT) | instid1(VALU_DEP_1)
	v_mad_u64_u32 v[9:10], null, s7, v3, v[0:1]
	v_mul_lo_u32 v3, v9, s11
	s_delay_alu instid0(VALU_DEP_1) | instskip(NEXT) | instid1(VALU_DEP_1)
	v_add_co_u32 v9, s0, v3, v8
	v_add_co_ci_u32_e64 v10, null, 0, 0, s0
	s_delay_alu instid0(VALU_DEP_1) | instskip(NEXT) | instid1(VALU_DEP_1)
	v_lshlrev_b64 v[9:10], 1, v[9:10]
	v_add_co_u32 v11, s0, s28, v9
	s_delay_alu instid0(VALU_DEP_1) | instskip(SKIP_1) | instid1(VALU_DEP_1)
	v_add_co_ci_u32_e64 v12, s0, s29, v10, s0
	v_add_co_u32 v13, s0, s30, v9
	v_add_co_ci_u32_e64 v14, s0, s31, v10, s0
	global_load_u16 v3, v[11:12], off
	v_add_co_u32 v9, s0, s2, v9
	s_delay_alu instid0(VALU_DEP_1) | instskip(SKIP_4) | instid1(VALU_DEP_1)
	v_add_co_ci_u32_e64 v10, s0, s3, v10, s0
	global_load_u16 v11, v[13:14], off
	global_load_u16 v9, v[9:10], off
	s_waitcnt vmcnt(2)
	v_cvt_f32_f16_e32 v3, v3
	v_add_f32_e32 v3, v1, v3
	s_waitcnt vmcnt(1)
	v_cvt_f32_f16_e32 v10, v11
	v_ashrrev_i32_e32 v1, 31, v0
	s_waitcnt vmcnt(0)
	v_cvt_f32_f16_e32 v11, v9
	s_delay_alu instid0(VALU_DEP_3) | instskip(NEXT) | instid1(VALU_DEP_3)
	v_add_f32_e32 v3, v3, v10
	v_lshlrev_b64 v[9:10], 1, v[0:1]
	s_delay_alu instid0(VALU_DEP_2) | instskip(NEXT) | instid1(VALU_DEP_1)
	v_dual_add_f32 v1, v3, v11 :: v_dual_add_nc_u32 v0, s4, v0
	v_cmp_le_i32_e64 s0, s16, v0
	s_delay_alu instid0(VALU_DEP_3) | instskip(NEXT) | instid1(VALU_DEP_3)
	v_add_co_u32 v9, s1, v6, v9
	v_cvt_f16_f32_e32 v1, v1
	v_add_co_ci_u32_e64 v10, s1, v7, v10, s1
	s_delay_alu instid0(VALU_DEP_4)
	s_or_b32 s5, s0, s5
	global_store_b16 v[9:10], v1, off
	s_and_not1_b32 exec_lo, exec_lo, s5
	s_cbranch_execz .LBB51_6
.LBB51_4:                               ; =>This Inner Loop Header: Depth=1
	v_mov_b32_e32 v1, 0
	s_and_saveexec_b32 s1, vcc_lo
	s_cbranch_execz .LBB51_3
; %bb.5:                                ;   in Loop: Header=BB51_4 Depth=1
	v_ashrrev_i32_e32 v3, 31, v2
	s_delay_alu instid0(VALU_DEP_1) | instskip(NEXT) | instid1(VALU_DEP_1)
	v_lshlrev_b64 v[9:10], 1, v[2:3]
	v_add_co_u32 v9, s0, v4, v9
	s_delay_alu instid0(VALU_DEP_1)
	v_add_co_ci_u32_e64 v10, s0, v5, v10, s0
	global_load_u16 v1, v[9:10], off
	s_waitcnt vmcnt(0)
	v_cvt_f32_f16_e32 v1, v1
	s_branch .LBB51_3
.LBB51_6:
	s_nop 0
	s_sendmsg sendmsg(MSG_DEALLOC_VGPRS)
	s_endpgm
	.section	.rodata,"a",@progbits
	.p2align	6, 0x0
	.amdhsa_kernel _ZL11k_bin_bcastIXadL_ZL6op_addffEE6__halfS0_S0_JPKS0_S2_S2_EEvPKT0_PKT1_PT2_iii15HIP_vector_typeIjLj3EESC_SC_SC_SC_iiiiiiiiiiiDpT3_
		.amdhsa_group_segment_fixed_size 0
		.amdhsa_private_segment_fixed_size 0
		.amdhsa_kernarg_size 424
		.amdhsa_user_sgpr_count 13
		.amdhsa_user_sgpr_dispatch_ptr 0
		.amdhsa_user_sgpr_queue_ptr 0
		.amdhsa_user_sgpr_kernarg_segment_ptr 1
		.amdhsa_user_sgpr_dispatch_id 0
		.amdhsa_user_sgpr_private_segment_size 0
		.amdhsa_wavefront_size32 1
		.amdhsa_uses_dynamic_stack 0
		.amdhsa_enable_private_segment 0
		.amdhsa_system_sgpr_workgroup_id_x 1
		.amdhsa_system_sgpr_workgroup_id_y 1
		.amdhsa_system_sgpr_workgroup_id_z 1
		.amdhsa_system_sgpr_workgroup_info 0
		.amdhsa_system_vgpr_workitem_id 2
		.amdhsa_next_free_vgpr 17
		.amdhsa_next_free_sgpr 44
		.amdhsa_reserve_vcc 1
		.amdhsa_float_round_mode_32 0
		.amdhsa_float_round_mode_16_64 0
		.amdhsa_float_denorm_mode_32 3
		.amdhsa_float_denorm_mode_16_64 3
		.amdhsa_dx10_clamp 1
		.amdhsa_ieee_mode 1
		.amdhsa_fp16_overflow 0
		.amdhsa_workgroup_processor_mode 1
		.amdhsa_memory_ordered 1
		.amdhsa_forward_progress 0
		.amdhsa_shared_vgpr_count 0
		.amdhsa_exception_fp_ieee_invalid_op 0
		.amdhsa_exception_fp_denorm_src 0
		.amdhsa_exception_fp_ieee_div_zero 0
		.amdhsa_exception_fp_ieee_overflow 0
		.amdhsa_exception_fp_ieee_underflow 0
		.amdhsa_exception_fp_ieee_inexact 0
		.amdhsa_exception_int_div_zero 0
	.end_amdhsa_kernel
	.section	.text._ZL11k_bin_bcastIXadL_ZL6op_addffEE6__halfS0_S0_JPKS0_S2_S2_EEvPKT0_PKT1_PT2_iii15HIP_vector_typeIjLj3EESC_SC_SC_SC_iiiiiiiiiiiDpT3_,"axG",@progbits,_ZL11k_bin_bcastIXadL_ZL6op_addffEE6__halfS0_S0_JPKS0_S2_S2_EEvPKT0_PKT1_PT2_iii15HIP_vector_typeIjLj3EESC_SC_SC_SC_iiiiiiiiiiiDpT3_,comdat
.Lfunc_end51:
	.size	_ZL11k_bin_bcastIXadL_ZL6op_addffEE6__halfS0_S0_JPKS0_S2_S2_EEvPKT0_PKT1_PT2_iii15HIP_vector_typeIjLj3EESC_SC_SC_SC_iiiiiiiiiiiDpT3_, .Lfunc_end51-_ZL11k_bin_bcastIXadL_ZL6op_addffEE6__halfS0_S0_JPKS0_S2_S2_EEvPKT0_PKT1_PT2_iii15HIP_vector_typeIjLj3EESC_SC_SC_SC_iiiiiiiiiiiDpT3_
                                        ; -- End function
	.section	.AMDGPU.csdata,"",@progbits
; Kernel info:
; codeLenInByte = 960
; NumSgprs: 46
; NumVgprs: 17
; ScratchSize: 0
; MemoryBound: 0
; FloatMode: 240
; IeeeMode: 1
; LDSByteSize: 0 bytes/workgroup (compile time only)
; SGPRBlocks: 5
; VGPRBlocks: 2
; NumSGPRsForWavesPerEU: 46
; NumVGPRsForWavesPerEU: 17
; Occupancy: 16
; WaveLimiterHint : 1
; COMPUTE_PGM_RSRC2:SCRATCH_EN: 0
; COMPUTE_PGM_RSRC2:USER_SGPR: 13
; COMPUTE_PGM_RSRC2:TRAP_HANDLER: 0
; COMPUTE_PGM_RSRC2:TGID_X_EN: 1
; COMPUTE_PGM_RSRC2:TGID_Y_EN: 1
; COMPUTE_PGM_RSRC2:TGID_Z_EN: 1
; COMPUTE_PGM_RSRC2:TIDIG_COMP_CNT: 2
	.section	.text._ZL19k_bin_bcast_unravelIXadL_ZL6op_addffEE6__halffS0_JPKfS2_S2_EEvPKT0_PKT1_PT2_15HIP_vector_typeIjLj3EESC_SC_jSC_SC_SC_SC_SC_SC_iiiiiiiiiiiDpT3_,"axG",@progbits,_ZL19k_bin_bcast_unravelIXadL_ZL6op_addffEE6__halffS0_JPKfS2_S2_EEvPKT0_PKT1_PT2_15HIP_vector_typeIjLj3EESC_SC_jSC_SC_SC_SC_SC_SC_iiiiiiiiiiiDpT3_,comdat
	.globl	_ZL19k_bin_bcast_unravelIXadL_ZL6op_addffEE6__halffS0_JPKfS2_S2_EEvPKT0_PKT1_PT2_15HIP_vector_typeIjLj3EESC_SC_jSC_SC_SC_SC_SC_SC_iiiiiiiiiiiDpT3_ ; -- Begin function _ZL19k_bin_bcast_unravelIXadL_ZL6op_addffEE6__halffS0_JPKfS2_S2_EEvPKT0_PKT1_PT2_15HIP_vector_typeIjLj3EESC_SC_jSC_SC_SC_SC_SC_SC_iiiiiiiiiiiDpT3_
	.p2align	8
	.type	_ZL19k_bin_bcast_unravelIXadL_ZL6op_addffEE6__halffS0_JPKfS2_S2_EEvPKT0_PKT1_PT2_15HIP_vector_typeIjLj3EESC_SC_jSC_SC_SC_SC_SC_SC_iiiiiiiiiiiDpT3_,@function
_ZL19k_bin_bcast_unravelIXadL_ZL6op_addffEE6__halffS0_JPKfS2_S2_EEvPKT0_PKT1_PT2_15HIP_vector_typeIjLj3EESC_SC_jSC_SC_SC_SC_SC_SC_iiiiiiiiiiiDpT3_: ; @_ZL19k_bin_bcast_unravelIXadL_ZL6op_addffEE6__halffS0_JPKfS2_S2_EEvPKT0_PKT1_PT2_15HIP_vector_typeIjLj3EESC_SC_jSC_SC_SC_SC_SC_SC_iiiiiiiiiiiDpT3_
; %bb.0:
	s_clause 0x1
	s_load_b32 s2, s[0:1], 0xdc
	s_load_b256 s[4:11], s[0:1], 0x38
	s_waitcnt lgkmcnt(0)
	s_and_b32 s2, s2, 0xffff
	s_delay_alu instid0(SALU_CYCLE_1) | instskip(SKIP_3) | instid1(VALU_DEP_1)
	v_mad_u64_u32 v[2:3], null, s15, s2, v[0:1]
	s_clause 0x1
	s_load_b128 s[12:15], s[0:1], 0x18
	s_load_b32 s2, s[0:1], 0x2c
	v_mul_hi_u32 v0, v2, s6
	s_delay_alu instid0(VALU_DEP_1) | instskip(NEXT) | instid1(VALU_DEP_1)
	v_add_nc_u32_e32 v0, v2, v0
	v_lshrrev_b32_e32 v1, s7, v0
	s_delay_alu instid0(VALU_DEP_1) | instskip(NEXT) | instid1(VALU_DEP_1)
	v_mul_lo_u32 v0, v1, s8
	v_sub_nc_u32_e32 v0, v2, v0
	s_delay_alu instid0(VALU_DEP_1) | instskip(NEXT) | instid1(VALU_DEP_1)
	v_mul_hi_u32 v2, v0, s9
	v_add_nc_u32_e32 v2, v0, v2
	s_delay_alu instid0(VALU_DEP_1) | instskip(NEXT) | instid1(VALU_DEP_1)
	v_lshrrev_b32_e32 v2, s10, v2
	v_mul_lo_u32 v3, v2, s11
	v_cmp_gt_u32_e64 s3, s4, v2
	v_cmp_gt_u32_e64 s4, s5, v1
	s_delay_alu instid0(VALU_DEP_3) | instskip(SKIP_1) | instid1(VALU_DEP_1)
	v_sub_nc_u32_e32 v0, v0, v3
	s_waitcnt lgkmcnt(0)
	v_mul_hi_u32 v3, v0, s12
	s_delay_alu instid0(VALU_DEP_1) | instskip(NEXT) | instid1(VALU_DEP_1)
	v_add_nc_u32_e32 v3, v0, v3
	v_lshrrev_b32_e32 v3, s13, v3
	s_delay_alu instid0(VALU_DEP_1) | instskip(SKIP_1) | instid1(VALU_DEP_2)
	v_mul_lo_u32 v4, v3, s14
	v_cmp_gt_u32_e64 s2, s2, v3
	v_sub_nc_u32_e32 v0, v0, v4
	s_delay_alu instid0(VALU_DEP_1) | instskip(NEXT) | instid1(VALU_DEP_3)
	v_cmp_gt_u32_e32 vcc_lo, s14, v0
	s_and_b32 s2, vcc_lo, s2
	s_delay_alu instid0(SALU_CYCLE_1) | instskip(NEXT) | instid1(SALU_CYCLE_1)
	s_and_b32 s2, s2, s3
	s_and_b32 s2, s4, s2
	s_delay_alu instid0(SALU_CYCLE_1)
	s_and_saveexec_b32 s3, s2
	s_cbranch_execz .LBB52_5
; %bb.1:
	s_clause 0x4
	s_load_b64 s[2:3], s[0:1], 0x0
	s_load_b128 s[20:23], s[0:1], 0xa8
	s_load_b256 s[4:11], s[0:1], 0x88
	s_load_b128 s[24:27], s[0:1], 0x78
	s_load_b256 s[12:19], s[0:1], 0x58
	s_waitcnt lgkmcnt(0)
	s_cmp_eq_u64 s[2:3], 0
	s_cbranch_scc1 .LBB52_3
; %bb.2:
	v_mul_lo_u32 v4, v1, s10
	v_mul_lo_u32 v6, v2, s9
	;; [unrolled: 1-line block ×3, first 2 shown]
	v_mov_b32_e32 v5, 0
	s_delay_alu instid0(VALU_DEP_2) | instskip(NEXT) | instid1(VALU_DEP_1)
	v_add3_u32 v4, v6, v4, v7
	v_lshlrev_b64 v[6:7], 1, v[4:5]
	v_mul_lo_u32 v4, v0, s7
	s_delay_alu instid0(VALU_DEP_2) | instskip(NEXT) | instid1(VALU_DEP_3)
	v_add_co_u32 v6, vcc_lo, s2, v6
	v_add_co_ci_u32_e32 v7, vcc_lo, s3, v7, vcc_lo
	s_delay_alu instid0(VALU_DEP_3) | instskip(NEXT) | instid1(VALU_DEP_1)
	v_lshlrev_b64 v[4:5], 1, v[4:5]
	v_add_co_u32 v4, vcc_lo, v6, v4
	s_delay_alu instid0(VALU_DEP_2)
	v_add_co_ci_u32_e32 v5, vcc_lo, v7, v5, vcc_lo
	global_load_u16 v4, v[4:5], off
	s_waitcnt vmcnt(0)
	v_cvt_f32_f16_e32 v4, v4
	s_branch .LBB52_4
.LBB52_3:
	v_mov_b32_e32 v4, 0
.LBB52_4:
	v_mul_hi_u32 v5, s25, v1
	v_mul_hi_u32 v6, s18, v2
	;; [unrolled: 1-line block ×4, first 2 shown]
	s_load_b64 s[2:3], s[0:1], 0xc8
	s_delay_alu instid0(VALU_DEP_4) | instskip(NEXT) | instid1(VALU_DEP_4)
	v_add_nc_u32_e32 v5, v1, v5
	v_add_nc_u32_e32 v6, v2, v6
	s_delay_alu instid0(VALU_DEP_4) | instskip(NEXT) | instid1(VALU_DEP_4)
	v_add_nc_u32_e32 v7, v3, v7
	v_add_nc_u32_e32 v8, v0, v8
	s_delay_alu instid0(VALU_DEP_4) | instskip(NEXT) | instid1(VALU_DEP_4)
	v_lshrrev_b32_e32 v5, s26, v5
	v_lshrrev_b32_e32 v6, s19, v6
	s_delay_alu instid0(VALU_DEP_4) | instskip(NEXT) | instid1(VALU_DEP_4)
	v_lshrrev_b32_e32 v7, s16, v7
	v_lshrrev_b32_e32 v8, s13, v8
	s_delay_alu instid0(VALU_DEP_4) | instskip(NEXT) | instid1(VALU_DEP_4)
	v_mul_lo_u32 v5, v5, s27
	v_mul_lo_u32 v6, v6, s24
	s_delay_alu instid0(VALU_DEP_4) | instskip(NEXT) | instid1(VALU_DEP_4)
	v_mul_lo_u32 v7, v7, s17
	v_mul_lo_u32 v8, v8, s14
	s_delay_alu instid0(VALU_DEP_4) | instskip(NEXT) | instid1(VALU_DEP_4)
	v_sub_nc_u32_e32 v5, v1, v5
	v_sub_nc_u32_e32 v6, v2, v6
	s_delay_alu instid0(VALU_DEP_4) | instskip(NEXT) | instid1(VALU_DEP_4)
	v_sub_nc_u32_e32 v7, v3, v7
	v_sub_nc_u32_e32 v8, v0, v8
	v_mul_lo_u32 v1, v1, s6
	v_mul_lo_u32 v5, v5, s22
	;; [unrolled: 1-line block ×5, first 2 shown]
	s_clause 0x1
	s_load_b128 s[8:11], s[0:1], 0xb8
	s_load_b64 s[0:1], s[0:1], 0x10
	v_mul_lo_u32 v2, v2, s5
	s_delay_alu instid0(VALU_DEP_3) | instskip(NEXT) | instid1(VALU_DEP_3)
	v_add3_u32 v5, v6, v5, v7
	v_ashrrev_i32_e32 v6, 31, v8
	s_delay_alu instid0(VALU_DEP_2) | instskip(SKIP_1) | instid1(VALU_DEP_2)
	v_ashrrev_i32_e32 v7, 31, v5
	v_add_co_u32 v5, vcc_lo, v8, v5
	v_add_co_ci_u32_e32 v6, vcc_lo, v6, v7, vcc_lo
	s_delay_alu instid0(VALU_DEP_1) | instskip(SKIP_1) | instid1(VALU_DEP_1)
	v_lshlrev_b64 v[5:6], 2, v[5:6]
	s_waitcnt lgkmcnt(0)
	v_add_co_u32 v7, vcc_lo, s8, v5
	s_delay_alu instid0(VALU_DEP_2)
	v_add_co_ci_u32_e32 v8, vcc_lo, s9, v6, vcc_lo
	v_add_co_u32 v9, vcc_lo, s10, v5
	v_add_co_ci_u32_e32 v10, vcc_lo, s11, v6, vcc_lo
	global_load_b32 v7, v[7:8], off
	v_add_co_u32 v5, vcc_lo, s2, v5
	v_add_co_ci_u32_e32 v6, vcc_lo, s3, v6, vcc_lo
	global_load_b32 v8, v[9:10], off
	global_load_b32 v5, v[5:6], off
	v_mul_lo_u32 v6, v3, s4
	v_mov_b32_e32 v3, 0
	s_delay_alu instid0(VALU_DEP_2) | instskip(NEXT) | instid1(VALU_DEP_2)
	v_add3_u32 v2, v2, v1, v6
	v_mov_b32_e32 v1, v3
	s_delay_alu instid0(VALU_DEP_2) | instskip(NEXT) | instid1(VALU_DEP_2)
	v_lshlrev_b64 v[2:3], 1, v[2:3]
	v_lshlrev_b64 v[0:1], 1, v[0:1]
	s_delay_alu instid0(VALU_DEP_2) | instskip(NEXT) | instid1(VALU_DEP_3)
	v_add_co_u32 v2, vcc_lo, s0, v2
	v_add_co_ci_u32_e32 v3, vcc_lo, s1, v3, vcc_lo
	s_delay_alu instid0(VALU_DEP_2) | instskip(NEXT) | instid1(VALU_DEP_2)
	v_add_co_u32 v0, vcc_lo, v2, v0
	v_add_co_ci_u32_e32 v1, vcc_lo, v3, v1, vcc_lo
	s_waitcnt vmcnt(2)
	v_add_f32_e32 v4, v4, v7
	s_waitcnt vmcnt(1)
	s_delay_alu instid0(VALU_DEP_1) | instskip(SKIP_1) | instid1(VALU_DEP_1)
	v_add_f32_e32 v4, v4, v8
	s_waitcnt vmcnt(0)
	v_add_f32_e32 v4, v4, v5
	s_delay_alu instid0(VALU_DEP_1)
	v_cvt_f16_f32_e32 v4, v4
	global_store_b16 v[0:1], v4, off
.LBB52_5:
	s_nop 0
	s_sendmsg sendmsg(MSG_DEALLOC_VGPRS)
	s_endpgm
	.section	.rodata,"a",@progbits
	.p2align	6, 0x0
	.amdhsa_kernel _ZL19k_bin_bcast_unravelIXadL_ZL6op_addffEE6__halffS0_JPKfS2_S2_EEvPKT0_PKT1_PT2_15HIP_vector_typeIjLj3EESC_SC_jSC_SC_SC_SC_SC_SC_iiiiiiiiiiiDpT3_
		.amdhsa_group_segment_fixed_size 0
		.amdhsa_private_segment_fixed_size 0
		.amdhsa_kernarg_size 464
		.amdhsa_user_sgpr_count 15
		.amdhsa_user_sgpr_dispatch_ptr 0
		.amdhsa_user_sgpr_queue_ptr 0
		.amdhsa_user_sgpr_kernarg_segment_ptr 1
		.amdhsa_user_sgpr_dispatch_id 0
		.amdhsa_user_sgpr_private_segment_size 0
		.amdhsa_wavefront_size32 1
		.amdhsa_uses_dynamic_stack 0
		.amdhsa_enable_private_segment 0
		.amdhsa_system_sgpr_workgroup_id_x 1
		.amdhsa_system_sgpr_workgroup_id_y 0
		.amdhsa_system_sgpr_workgroup_id_z 0
		.amdhsa_system_sgpr_workgroup_info 0
		.amdhsa_system_vgpr_workitem_id 0
		.amdhsa_next_free_vgpr 11
		.amdhsa_next_free_sgpr 28
		.amdhsa_reserve_vcc 1
		.amdhsa_float_round_mode_32 0
		.amdhsa_float_round_mode_16_64 0
		.amdhsa_float_denorm_mode_32 3
		.amdhsa_float_denorm_mode_16_64 3
		.amdhsa_dx10_clamp 1
		.amdhsa_ieee_mode 1
		.amdhsa_fp16_overflow 0
		.amdhsa_workgroup_processor_mode 1
		.amdhsa_memory_ordered 1
		.amdhsa_forward_progress 0
		.amdhsa_shared_vgpr_count 0
		.amdhsa_exception_fp_ieee_invalid_op 0
		.amdhsa_exception_fp_denorm_src 0
		.amdhsa_exception_fp_ieee_div_zero 0
		.amdhsa_exception_fp_ieee_overflow 0
		.amdhsa_exception_fp_ieee_underflow 0
		.amdhsa_exception_fp_ieee_inexact 0
		.amdhsa_exception_int_div_zero 0
	.end_amdhsa_kernel
	.section	.text._ZL19k_bin_bcast_unravelIXadL_ZL6op_addffEE6__halffS0_JPKfS2_S2_EEvPKT0_PKT1_PT2_15HIP_vector_typeIjLj3EESC_SC_jSC_SC_SC_SC_SC_SC_iiiiiiiiiiiDpT3_,"axG",@progbits,_ZL19k_bin_bcast_unravelIXadL_ZL6op_addffEE6__halffS0_JPKfS2_S2_EEvPKT0_PKT1_PT2_15HIP_vector_typeIjLj3EESC_SC_jSC_SC_SC_SC_SC_SC_iiiiiiiiiiiDpT3_,comdat
.Lfunc_end52:
	.size	_ZL19k_bin_bcast_unravelIXadL_ZL6op_addffEE6__halffS0_JPKfS2_S2_EEvPKT0_PKT1_PT2_15HIP_vector_typeIjLj3EESC_SC_jSC_SC_SC_SC_SC_SC_iiiiiiiiiiiDpT3_, .Lfunc_end52-_ZL19k_bin_bcast_unravelIXadL_ZL6op_addffEE6__halffS0_JPKfS2_S2_EEvPKT0_PKT1_PT2_15HIP_vector_typeIjLj3EESC_SC_jSC_SC_SC_SC_SC_SC_iiiiiiiiiiiDpT3_
                                        ; -- End function
	.section	.AMDGPU.csdata,"",@progbits
; Kernel info:
; codeLenInByte = 892
; NumSgprs: 30
; NumVgprs: 11
; ScratchSize: 0
; MemoryBound: 0
; FloatMode: 240
; IeeeMode: 1
; LDSByteSize: 0 bytes/workgroup (compile time only)
; SGPRBlocks: 3
; VGPRBlocks: 1
; NumSGPRsForWavesPerEU: 30
; NumVGPRsForWavesPerEU: 11
; Occupancy: 16
; WaveLimiterHint : 1
; COMPUTE_PGM_RSRC2:SCRATCH_EN: 0
; COMPUTE_PGM_RSRC2:USER_SGPR: 15
; COMPUTE_PGM_RSRC2:TRAP_HANDLER: 0
; COMPUTE_PGM_RSRC2:TGID_X_EN: 1
; COMPUTE_PGM_RSRC2:TGID_Y_EN: 0
; COMPUTE_PGM_RSRC2:TGID_Z_EN: 0
; COMPUTE_PGM_RSRC2:TIDIG_COMP_CNT: 0
	.section	.text._ZL11k_bin_bcastIXadL_ZL6op_addffEE6__halffS0_JPKfS2_S2_EEvPKT0_PKT1_PT2_iii15HIP_vector_typeIjLj3EESC_SC_SC_SC_iiiiiiiiiiiDpT3_,"axG",@progbits,_ZL11k_bin_bcastIXadL_ZL6op_addffEE6__halffS0_JPKfS2_S2_EEvPKT0_PKT1_PT2_iii15HIP_vector_typeIjLj3EESC_SC_SC_SC_iiiiiiiiiiiDpT3_,comdat
	.globl	_ZL11k_bin_bcastIXadL_ZL6op_addffEE6__halffS0_JPKfS2_S2_EEvPKT0_PKT1_PT2_iii15HIP_vector_typeIjLj3EESC_SC_SC_SC_iiiiiiiiiiiDpT3_ ; -- Begin function _ZL11k_bin_bcastIXadL_ZL6op_addffEE6__halffS0_JPKfS2_S2_EEvPKT0_PKT1_PT2_iii15HIP_vector_typeIjLj3EESC_SC_SC_SC_iiiiiiiiiiiDpT3_
	.p2align	8
	.type	_ZL11k_bin_bcastIXadL_ZL6op_addffEE6__halffS0_JPKfS2_S2_EEvPKT0_PKT1_PT2_iii15HIP_vector_typeIjLj3EESC_SC_SC_SC_iiiiiiiiiiiDpT3_,@function
_ZL11k_bin_bcastIXadL_ZL6op_addffEE6__halffS0_JPKfS2_S2_EEvPKT0_PKT1_PT2_iii15HIP_vector_typeIjLj3EESC_SC_SC_SC_iiiiiiiiiiiDpT3_: ; @_ZL11k_bin_bcastIXadL_ZL6op_addffEE6__halffS0_JPKfS2_S2_EEvPKT0_PKT1_PT2_iii15HIP_vector_typeIjLj3EESC_SC_SC_SC_iiiiiiiiiiiDpT3_
; %bb.0:
	s_clause 0x1
	s_load_b64 s[2:3], s[0:1], 0xb4
	s_load_b256 s[16:23], s[0:1], 0x18
	v_bfe_u32 v1, v0, 20, 10
	s_add_u32 s34, s0, 0xa8
	s_addc_u32 s35, s1, 0
	s_waitcnt lgkmcnt(0)
	s_and_b32 s3, s3, 0xffff
	s_and_b32 s12, s2, 0xffff
	v_mad_u64_u32 v[4:5], null, s15, s3, v[1:2]
	v_and_b32_e32 v2, 0x3ff, v0
	v_bfe_u32 v5, v0, 10, 10
	s_lshr_b32 s3, s2, 16
	s_delay_alu instid0(VALU_DEP_3) | instskip(NEXT) | instid1(VALU_DEP_1)
	v_mul_hi_u32 v1, v4, s19
	v_add_nc_u32_e32 v1, v4, v1
	s_delay_alu instid0(VALU_DEP_1) | instskip(NEXT) | instid1(VALU_DEP_1)
	v_lshrrev_b32_e32 v3, s20, v1
	v_mul_lo_u32 v6, v3, s21
	v_mad_u64_u32 v[0:1], null, s13, s12, v[2:3]
	s_delay_alu instid0(VALU_DEP_2) | instskip(SKIP_1) | instid1(VALU_DEP_3)
	v_mad_u64_u32 v[1:2], null, s14, s3, v[5:6]
	v_sub_nc_u32_e32 v4, v4, v6
	v_cmp_gt_u32_e32 vcc_lo, s16, v0
	v_cmp_gt_u32_e64 s3, s18, v3
	s_delay_alu instid0(VALU_DEP_3) | instskip(SKIP_1) | instid1(VALU_DEP_1)
	v_cmp_gt_u32_e64 s4, s21, v4
	v_cmp_gt_u32_e64 s2, s17, v1
	s_and_b32 s2, vcc_lo, s2
	s_delay_alu instid0(VALU_DEP_3) | instid1(SALU_CYCLE_1)
	s_and_b32 s2, s2, s3
	s_delay_alu instid0(VALU_DEP_2) | instid1(SALU_CYCLE_1)
	s_and_b32 s2, s2, s4
	s_delay_alu instid0(SALU_CYCLE_1)
	s_and_saveexec_b32 s3, s2
	s_cbranch_execz .LBB53_6
; %bb.1:
	v_cmp_gt_i32_e32 vcc_lo, s16, v0
	s_and_b32 exec_lo, exec_lo, vcc_lo
	s_cbranch_execz .LBB53_6
; %bb.2:
	s_clause 0x2
	s_load_b256 s[36:43], s[0:1], 0x3c
	s_load_b256 s[4:11], s[0:1], 0x60
	;; [unrolled: 1-line block ×3, first 2 shown]
	s_load_b32 s13, s[34:35], 0x0
	s_clause 0x1
	s_load_b32 s2, s[0:1], 0x5c
	s_load_b64 s[14:15], s[0:1], 0x0
	s_waitcnt lgkmcnt(0)
	v_mul_hi_u32 v2, s36, v1
	v_mul_hi_u32 v5, s39, v3
	;; [unrolled: 1-line block ×3, first 2 shown]
	v_mul_lo_u32 v9, v4, s10
	v_mul_lo_u32 v10, v3, s9
	;; [unrolled: 1-line block ×3, first 2 shown]
	v_mov_b32_e32 v6, 0
	v_mul_lo_u32 v13, v3, s5
	v_add_nc_u32_e32 v2, v1, v2
	v_add_nc_u32_e32 v5, v3, v5
	s_delay_alu instid0(VALU_DEP_4) | instskip(SKIP_1) | instid1(VALU_DEP_4)
	v_dual_mov_b32 v8, v6 :: v_dual_add_nc_u32 v7, v4, v7
	v_mul_lo_u32 v14, v1, s4
	v_lshrrev_b32_e32 v2, s37, v2
	s_delay_alu instid0(VALU_DEP_4) | instskip(NEXT) | instid1(VALU_DEP_4)
	v_lshrrev_b32_e32 v15, s40, v5
	v_lshrrev_b32_e32 v16, s43, v7
	s_clause 0x1
	s_load_b32 s8, s[0:1], 0x38
	s_load_b64 s[4:5], s[0:1], 0x10
	v_add3_u32 v5, v10, v11, v9
	v_mul_lo_u32 v12, v4, s6
	v_mul_lo_u32 v9, v2, s38
	;; [unrolled: 1-line block ×4, first 2 shown]
	v_lshlrev_b64 v[5:6], 1, v[5:6]
	s_load_b64 s[2:3], s[0:1], 0xa0
	s_cmp_lg_u64 s[14:15], 0
	v_mul_lo_u32 v2, s7, v0
	v_add3_u32 v7, v13, v14, v12
	v_sub_nc_u32_e32 v1, v1, v9
	v_sub_nc_u32_e32 v3, v3, v10
	;; [unrolled: 1-line block ×3, first 2 shown]
	v_add_co_u32 v9, vcc_lo, s14, v5
	v_add_co_ci_u32_e32 v5, vcc_lo, s15, v6, vcc_lo
	v_lshlrev_b64 v[7:8], 1, v[7:8]
	s_delay_alu instid0(VALU_DEP_4)
	v_mul_lo_u32 v10, v4, s26
	v_mul_lo_u32 v3, v3, s25
	;; [unrolled: 1-line block ×3, first 2 shown]
	s_cselect_b32 vcc_lo, -1, 0
	v_cndmask_b32_e32 v5, 0, v5, vcc_lo
	v_cndmask_b32_e32 v4, 0, v9, vcc_lo
	s_waitcnt lgkmcnt(0)
	v_add_co_u32 v6, vcc_lo, s4, v7
	v_add_co_ci_u32_e32 v7, vcc_lo, s5, v8, vcc_lo
	s_delay_alu instid0(VALU_DEP_3)
	v_cmp_ne_u64_e32 vcc_lo, 0, v[4:5]
	v_add3_u32 v8, v3, v10, v1
	s_mul_i32 s4, s13, s12
	s_mov_b32 s5, 0
	s_mul_i32 s6, s4, s7
	s_sub_i32 s7, 0, s8
	s_branch .LBB53_4
.LBB53_3:                               ;   in Loop: Header=BB53_4 Depth=1
	s_or_b32 exec_lo, exec_lo, s1
	v_mul_hi_u32 v3, s22, v0
	v_add_nc_u32_e32 v2, s6, v2
	s_delay_alu instid0(VALU_DEP_2) | instskip(NEXT) | instid1(VALU_DEP_1)
	v_add_nc_u32_e32 v3, v0, v3
	v_lshrrev_b32_e32 v3, s23, v3
	s_delay_alu instid0(VALU_DEP_1) | instskip(NEXT) | instid1(VALU_DEP_1)
	v_mad_u64_u32 v[9:10], null, s7, v3, v[0:1]
	v_mul_lo_u32 v3, v9, s11
	s_delay_alu instid0(VALU_DEP_1) | instskip(NEXT) | instid1(VALU_DEP_1)
	v_add_co_u32 v9, s0, v3, v8
	v_add_co_ci_u32_e64 v10, null, 0, 0, s0
	s_delay_alu instid0(VALU_DEP_1) | instskip(NEXT) | instid1(VALU_DEP_1)
	v_lshlrev_b64 v[9:10], 2, v[9:10]
	v_add_co_u32 v11, s0, s28, v9
	s_delay_alu instid0(VALU_DEP_1) | instskip(SKIP_1) | instid1(VALU_DEP_1)
	v_add_co_ci_u32_e64 v12, s0, s29, v10, s0
	v_add_co_u32 v13, s0, s30, v9
	v_add_co_ci_u32_e64 v14, s0, s31, v10, s0
	global_load_b32 v3, v[11:12], off
	v_add_co_u32 v9, s0, s2, v9
	s_delay_alu instid0(VALU_DEP_1)
	v_add_co_ci_u32_e64 v10, s0, s3, v10, s0
	global_load_b32 v11, v[13:14], off
	global_load_b32 v12, v[9:10], off
	s_waitcnt vmcnt(2)
	v_add_f32_e32 v3, v1, v3
	v_ashrrev_i32_e32 v1, 31, v0
	s_delay_alu instid0(VALU_DEP_1) | instskip(SKIP_1) | instid1(VALU_DEP_3)
	v_lshlrev_b64 v[9:10], 1, v[0:1]
	s_waitcnt vmcnt(1)
	v_dual_add_f32 v3, v3, v11 :: v_dual_add_nc_u32 v0, s4, v0
	s_delay_alu instid0(VALU_DEP_1) | instskip(SKIP_1) | instid1(VALU_DEP_2)
	v_cmp_le_i32_e64 s0, s16, v0
	s_waitcnt vmcnt(0)
	v_add_f32_e32 v1, v3, v12
	v_add_co_u32 v9, s1, v6, v9
	s_delay_alu instid0(VALU_DEP_1) | instskip(NEXT) | instid1(VALU_DEP_3)
	v_add_co_ci_u32_e64 v10, s1, v7, v10, s1
	v_cvt_f16_f32_e32 v1, v1
	s_or_b32 s5, s0, s5
	global_store_b16 v[9:10], v1, off
	s_and_not1_b32 exec_lo, exec_lo, s5
	s_cbranch_execz .LBB53_6
.LBB53_4:                               ; =>This Inner Loop Header: Depth=1
	v_mov_b32_e32 v1, 0
	s_and_saveexec_b32 s1, vcc_lo
	s_cbranch_execz .LBB53_3
; %bb.5:                                ;   in Loop: Header=BB53_4 Depth=1
	v_ashrrev_i32_e32 v3, 31, v2
	s_delay_alu instid0(VALU_DEP_1) | instskip(NEXT) | instid1(VALU_DEP_1)
	v_lshlrev_b64 v[9:10], 1, v[2:3]
	v_add_co_u32 v9, s0, v4, v9
	s_delay_alu instid0(VALU_DEP_1)
	v_add_co_ci_u32_e64 v10, s0, v5, v10, s0
	global_load_u16 v1, v[9:10], off
	s_waitcnt vmcnt(0)
	v_cvt_f32_f16_e32 v1, v1
	s_branch .LBB53_3
.LBB53_6:
	s_nop 0
	s_sendmsg sendmsg(MSG_DEALLOC_VGPRS)
	s_endpgm
	.section	.rodata,"a",@progbits
	.p2align	6, 0x0
	.amdhsa_kernel _ZL11k_bin_bcastIXadL_ZL6op_addffEE6__halffS0_JPKfS2_S2_EEvPKT0_PKT1_PT2_iii15HIP_vector_typeIjLj3EESC_SC_SC_SC_iiiiiiiiiiiDpT3_
		.amdhsa_group_segment_fixed_size 0
		.amdhsa_private_segment_fixed_size 0
		.amdhsa_kernarg_size 424
		.amdhsa_user_sgpr_count 13
		.amdhsa_user_sgpr_dispatch_ptr 0
		.amdhsa_user_sgpr_queue_ptr 0
		.amdhsa_user_sgpr_kernarg_segment_ptr 1
		.amdhsa_user_sgpr_dispatch_id 0
		.amdhsa_user_sgpr_private_segment_size 0
		.amdhsa_wavefront_size32 1
		.amdhsa_uses_dynamic_stack 0
		.amdhsa_enable_private_segment 0
		.amdhsa_system_sgpr_workgroup_id_x 1
		.amdhsa_system_sgpr_workgroup_id_y 1
		.amdhsa_system_sgpr_workgroup_id_z 1
		.amdhsa_system_sgpr_workgroup_info 0
		.amdhsa_system_vgpr_workitem_id 2
		.amdhsa_next_free_vgpr 17
		.amdhsa_next_free_sgpr 44
		.amdhsa_reserve_vcc 1
		.amdhsa_float_round_mode_32 0
		.amdhsa_float_round_mode_16_64 0
		.amdhsa_float_denorm_mode_32 3
		.amdhsa_float_denorm_mode_16_64 3
		.amdhsa_dx10_clamp 1
		.amdhsa_ieee_mode 1
		.amdhsa_fp16_overflow 0
		.amdhsa_workgroup_processor_mode 1
		.amdhsa_memory_ordered 1
		.amdhsa_forward_progress 0
		.amdhsa_shared_vgpr_count 0
		.amdhsa_exception_fp_ieee_invalid_op 0
		.amdhsa_exception_fp_denorm_src 0
		.amdhsa_exception_fp_ieee_div_zero 0
		.amdhsa_exception_fp_ieee_overflow 0
		.amdhsa_exception_fp_ieee_underflow 0
		.amdhsa_exception_fp_ieee_inexact 0
		.amdhsa_exception_int_div_zero 0
	.end_amdhsa_kernel
	.section	.text._ZL11k_bin_bcastIXadL_ZL6op_addffEE6__halffS0_JPKfS2_S2_EEvPKT0_PKT1_PT2_iii15HIP_vector_typeIjLj3EESC_SC_SC_SC_iiiiiiiiiiiDpT3_,"axG",@progbits,_ZL11k_bin_bcastIXadL_ZL6op_addffEE6__halffS0_JPKfS2_S2_EEvPKT0_PKT1_PT2_iii15HIP_vector_typeIjLj3EESC_SC_SC_SC_iiiiiiiiiiiDpT3_,comdat
.Lfunc_end53:
	.size	_ZL11k_bin_bcastIXadL_ZL6op_addffEE6__halffS0_JPKfS2_S2_EEvPKT0_PKT1_PT2_iii15HIP_vector_typeIjLj3EESC_SC_SC_SC_iiiiiiiiiiiDpT3_, .Lfunc_end53-_ZL11k_bin_bcastIXadL_ZL6op_addffEE6__halffS0_JPKfS2_S2_EEvPKT0_PKT1_PT2_iii15HIP_vector_typeIjLj3EESC_SC_SC_SC_iiiiiiiiiiiDpT3_
                                        ; -- End function
	.section	.AMDGPU.csdata,"",@progbits
; Kernel info:
; codeLenInByte = 944
; NumSgprs: 46
; NumVgprs: 17
; ScratchSize: 0
; MemoryBound: 0
; FloatMode: 240
; IeeeMode: 1
; LDSByteSize: 0 bytes/workgroup (compile time only)
; SGPRBlocks: 5
; VGPRBlocks: 2
; NumSGPRsForWavesPerEU: 46
; NumVGPRsForWavesPerEU: 17
; Occupancy: 16
; WaveLimiterHint : 1
; COMPUTE_PGM_RSRC2:SCRATCH_EN: 0
; COMPUTE_PGM_RSRC2:USER_SGPR: 13
; COMPUTE_PGM_RSRC2:TRAP_HANDLER: 0
; COMPUTE_PGM_RSRC2:TGID_X_EN: 1
; COMPUTE_PGM_RSRC2:TGID_Y_EN: 1
; COMPUTE_PGM_RSRC2:TGID_Z_EN: 1
; COMPUTE_PGM_RSRC2:TIDIG_COMP_CNT: 2
	.section	.text._ZL19k_bin_bcast_unravelIXadL_ZL6op_addffEE6__halfffJPKfS2_S2_EEvPKT0_PKT1_PT2_15HIP_vector_typeIjLj3EESC_SC_jSC_SC_SC_SC_SC_SC_iiiiiiiiiiiDpT3_,"axG",@progbits,_ZL19k_bin_bcast_unravelIXadL_ZL6op_addffEE6__halfffJPKfS2_S2_EEvPKT0_PKT1_PT2_15HIP_vector_typeIjLj3EESC_SC_jSC_SC_SC_SC_SC_SC_iiiiiiiiiiiDpT3_,comdat
	.globl	_ZL19k_bin_bcast_unravelIXadL_ZL6op_addffEE6__halfffJPKfS2_S2_EEvPKT0_PKT1_PT2_15HIP_vector_typeIjLj3EESC_SC_jSC_SC_SC_SC_SC_SC_iiiiiiiiiiiDpT3_ ; -- Begin function _ZL19k_bin_bcast_unravelIXadL_ZL6op_addffEE6__halfffJPKfS2_S2_EEvPKT0_PKT1_PT2_15HIP_vector_typeIjLj3EESC_SC_jSC_SC_SC_SC_SC_SC_iiiiiiiiiiiDpT3_
	.p2align	8
	.type	_ZL19k_bin_bcast_unravelIXadL_ZL6op_addffEE6__halfffJPKfS2_S2_EEvPKT0_PKT1_PT2_15HIP_vector_typeIjLj3EESC_SC_jSC_SC_SC_SC_SC_SC_iiiiiiiiiiiDpT3_,@function
_ZL19k_bin_bcast_unravelIXadL_ZL6op_addffEE6__halfffJPKfS2_S2_EEvPKT0_PKT1_PT2_15HIP_vector_typeIjLj3EESC_SC_jSC_SC_SC_SC_SC_SC_iiiiiiiiiiiDpT3_: ; @_ZL19k_bin_bcast_unravelIXadL_ZL6op_addffEE6__halfffJPKfS2_S2_EEvPKT0_PKT1_PT2_15HIP_vector_typeIjLj3EESC_SC_jSC_SC_SC_SC_SC_SC_iiiiiiiiiiiDpT3_
; %bb.0:
	s_clause 0x1
	s_load_b32 s2, s[0:1], 0xdc
	s_load_b256 s[4:11], s[0:1], 0x38
	s_waitcnt lgkmcnt(0)
	s_and_b32 s2, s2, 0xffff
	s_delay_alu instid0(SALU_CYCLE_1) | instskip(SKIP_3) | instid1(VALU_DEP_1)
	v_mad_u64_u32 v[2:3], null, s15, s2, v[0:1]
	s_clause 0x1
	s_load_b128 s[12:15], s[0:1], 0x18
	s_load_b32 s2, s[0:1], 0x2c
	v_mul_hi_u32 v0, v2, s6
	s_delay_alu instid0(VALU_DEP_1) | instskip(NEXT) | instid1(VALU_DEP_1)
	v_add_nc_u32_e32 v0, v2, v0
	v_lshrrev_b32_e32 v1, s7, v0
	s_delay_alu instid0(VALU_DEP_1) | instskip(NEXT) | instid1(VALU_DEP_1)
	v_mul_lo_u32 v0, v1, s8
	v_sub_nc_u32_e32 v0, v2, v0
	s_delay_alu instid0(VALU_DEP_1) | instskip(NEXT) | instid1(VALU_DEP_1)
	v_mul_hi_u32 v2, v0, s9
	v_add_nc_u32_e32 v2, v0, v2
	s_delay_alu instid0(VALU_DEP_1) | instskip(NEXT) | instid1(VALU_DEP_1)
	v_lshrrev_b32_e32 v2, s10, v2
	v_mul_lo_u32 v3, v2, s11
	v_cmp_gt_u32_e64 s3, s4, v2
	v_cmp_gt_u32_e64 s4, s5, v1
	s_delay_alu instid0(VALU_DEP_3) | instskip(SKIP_1) | instid1(VALU_DEP_1)
	v_sub_nc_u32_e32 v0, v0, v3
	s_waitcnt lgkmcnt(0)
	v_mul_hi_u32 v3, v0, s12
	s_delay_alu instid0(VALU_DEP_1) | instskip(NEXT) | instid1(VALU_DEP_1)
	v_add_nc_u32_e32 v3, v0, v3
	v_lshrrev_b32_e32 v3, s13, v3
	s_delay_alu instid0(VALU_DEP_1) | instskip(SKIP_1) | instid1(VALU_DEP_2)
	v_mul_lo_u32 v4, v3, s14
	v_cmp_gt_u32_e64 s2, s2, v3
	v_sub_nc_u32_e32 v0, v0, v4
	s_delay_alu instid0(VALU_DEP_1) | instskip(NEXT) | instid1(VALU_DEP_3)
	v_cmp_gt_u32_e32 vcc_lo, s14, v0
	s_and_b32 s2, vcc_lo, s2
	s_delay_alu instid0(SALU_CYCLE_1) | instskip(NEXT) | instid1(SALU_CYCLE_1)
	s_and_b32 s2, s2, s3
	s_and_b32 s2, s4, s2
	s_delay_alu instid0(SALU_CYCLE_1)
	s_and_saveexec_b32 s3, s2
	s_cbranch_execz .LBB54_5
; %bb.1:
	s_clause 0x4
	s_load_b64 s[2:3], s[0:1], 0x0
	s_load_b128 s[20:23], s[0:1], 0xa8
	s_load_b256 s[4:11], s[0:1], 0x88
	s_load_b128 s[24:27], s[0:1], 0x78
	s_load_b256 s[12:19], s[0:1], 0x58
	s_waitcnt lgkmcnt(0)
	s_cmp_eq_u64 s[2:3], 0
	s_cbranch_scc1 .LBB54_3
; %bb.2:
	v_mul_lo_u32 v4, v1, s10
	v_mul_lo_u32 v6, v2, s9
	;; [unrolled: 1-line block ×3, first 2 shown]
	v_mov_b32_e32 v5, 0
	s_delay_alu instid0(VALU_DEP_2) | instskip(NEXT) | instid1(VALU_DEP_1)
	v_add3_u32 v4, v6, v4, v7
	v_lshlrev_b64 v[6:7], 1, v[4:5]
	v_mul_lo_u32 v4, v0, s7
	s_delay_alu instid0(VALU_DEP_2) | instskip(NEXT) | instid1(VALU_DEP_3)
	v_add_co_u32 v6, vcc_lo, s2, v6
	v_add_co_ci_u32_e32 v7, vcc_lo, s3, v7, vcc_lo
	s_delay_alu instid0(VALU_DEP_3) | instskip(NEXT) | instid1(VALU_DEP_1)
	v_lshlrev_b64 v[4:5], 1, v[4:5]
	v_add_co_u32 v4, vcc_lo, v6, v4
	s_delay_alu instid0(VALU_DEP_2)
	v_add_co_ci_u32_e32 v5, vcc_lo, v7, v5, vcc_lo
	global_load_u16 v4, v[4:5], off
	s_waitcnt vmcnt(0)
	v_cvt_f32_f16_e32 v4, v4
	s_branch .LBB54_4
.LBB54_3:
	v_mov_b32_e32 v4, 0
.LBB54_4:
	v_mul_hi_u32 v5, s25, v1
	v_mul_hi_u32 v6, s18, v2
	;; [unrolled: 1-line block ×4, first 2 shown]
	s_load_b64 s[2:3], s[0:1], 0xc8
	s_delay_alu instid0(VALU_DEP_4) | instskip(NEXT) | instid1(VALU_DEP_4)
	v_add_nc_u32_e32 v5, v1, v5
	v_add_nc_u32_e32 v6, v2, v6
	s_delay_alu instid0(VALU_DEP_4) | instskip(NEXT) | instid1(VALU_DEP_4)
	v_add_nc_u32_e32 v7, v3, v7
	v_add_nc_u32_e32 v8, v0, v8
	s_delay_alu instid0(VALU_DEP_4) | instskip(NEXT) | instid1(VALU_DEP_4)
	v_lshrrev_b32_e32 v5, s26, v5
	v_lshrrev_b32_e32 v6, s19, v6
	s_delay_alu instid0(VALU_DEP_4) | instskip(NEXT) | instid1(VALU_DEP_4)
	v_lshrrev_b32_e32 v7, s16, v7
	v_lshrrev_b32_e32 v8, s13, v8
	s_delay_alu instid0(VALU_DEP_4) | instskip(NEXT) | instid1(VALU_DEP_4)
	v_mul_lo_u32 v5, v5, s27
	v_mul_lo_u32 v6, v6, s24
	s_delay_alu instid0(VALU_DEP_4) | instskip(NEXT) | instid1(VALU_DEP_4)
	v_mul_lo_u32 v7, v7, s17
	v_mul_lo_u32 v8, v8, s14
	s_delay_alu instid0(VALU_DEP_4) | instskip(NEXT) | instid1(VALU_DEP_4)
	v_sub_nc_u32_e32 v5, v1, v5
	v_sub_nc_u32_e32 v6, v2, v6
	s_delay_alu instid0(VALU_DEP_4) | instskip(NEXT) | instid1(VALU_DEP_4)
	v_sub_nc_u32_e32 v7, v3, v7
	v_sub_nc_u32_e32 v8, v0, v8
	v_mul_lo_u32 v1, v1, s6
	v_mul_lo_u32 v5, v5, s22
	;; [unrolled: 1-line block ×5, first 2 shown]
	s_clause 0x1
	s_load_b128 s[8:11], s[0:1], 0xb8
	s_load_b64 s[0:1], s[0:1], 0x10
	v_mul_lo_u32 v2, v2, s5
	s_delay_alu instid0(VALU_DEP_3) | instskip(NEXT) | instid1(VALU_DEP_3)
	v_add3_u32 v5, v6, v5, v7
	v_ashrrev_i32_e32 v6, 31, v8
	s_delay_alu instid0(VALU_DEP_2) | instskip(SKIP_1) | instid1(VALU_DEP_2)
	v_ashrrev_i32_e32 v7, 31, v5
	v_add_co_u32 v5, vcc_lo, v8, v5
	v_add_co_ci_u32_e32 v6, vcc_lo, v6, v7, vcc_lo
	s_delay_alu instid0(VALU_DEP_1) | instskip(SKIP_1) | instid1(VALU_DEP_1)
	v_lshlrev_b64 v[5:6], 2, v[5:6]
	s_waitcnt lgkmcnt(0)
	v_add_co_u32 v7, vcc_lo, s8, v5
	s_delay_alu instid0(VALU_DEP_2)
	v_add_co_ci_u32_e32 v8, vcc_lo, s9, v6, vcc_lo
	v_add_co_u32 v9, vcc_lo, s10, v5
	v_add_co_ci_u32_e32 v10, vcc_lo, s11, v6, vcc_lo
	global_load_b32 v7, v[7:8], off
	v_add_co_u32 v5, vcc_lo, s2, v5
	v_add_co_ci_u32_e32 v6, vcc_lo, s3, v6, vcc_lo
	global_load_b32 v8, v[9:10], off
	global_load_b32 v5, v[5:6], off
	v_mul_lo_u32 v6, v3, s4
	v_mov_b32_e32 v3, 0
	s_delay_alu instid0(VALU_DEP_2) | instskip(NEXT) | instid1(VALU_DEP_2)
	v_add3_u32 v2, v2, v1, v6
	v_mov_b32_e32 v1, v3
	s_delay_alu instid0(VALU_DEP_2) | instskip(NEXT) | instid1(VALU_DEP_2)
	v_lshlrev_b64 v[2:3], 2, v[2:3]
	v_lshlrev_b64 v[0:1], 2, v[0:1]
	s_delay_alu instid0(VALU_DEP_2) | instskip(NEXT) | instid1(VALU_DEP_3)
	v_add_co_u32 v2, vcc_lo, s0, v2
	v_add_co_ci_u32_e32 v3, vcc_lo, s1, v3, vcc_lo
	s_delay_alu instid0(VALU_DEP_2) | instskip(NEXT) | instid1(VALU_DEP_2)
	v_add_co_u32 v0, vcc_lo, v2, v0
	v_add_co_ci_u32_e32 v1, vcc_lo, v3, v1, vcc_lo
	s_waitcnt vmcnt(2)
	v_add_f32_e32 v4, v4, v7
	s_waitcnt vmcnt(1)
	s_delay_alu instid0(VALU_DEP_1) | instskip(SKIP_1) | instid1(VALU_DEP_1)
	v_add_f32_e32 v4, v4, v8
	s_waitcnt vmcnt(0)
	v_add_f32_e32 v4, v4, v5
	global_store_b32 v[0:1], v4, off
.LBB54_5:
	s_nop 0
	s_sendmsg sendmsg(MSG_DEALLOC_VGPRS)
	s_endpgm
	.section	.rodata,"a",@progbits
	.p2align	6, 0x0
	.amdhsa_kernel _ZL19k_bin_bcast_unravelIXadL_ZL6op_addffEE6__halfffJPKfS2_S2_EEvPKT0_PKT1_PT2_15HIP_vector_typeIjLj3EESC_SC_jSC_SC_SC_SC_SC_SC_iiiiiiiiiiiDpT3_
		.amdhsa_group_segment_fixed_size 0
		.amdhsa_private_segment_fixed_size 0
		.amdhsa_kernarg_size 464
		.amdhsa_user_sgpr_count 15
		.amdhsa_user_sgpr_dispatch_ptr 0
		.amdhsa_user_sgpr_queue_ptr 0
		.amdhsa_user_sgpr_kernarg_segment_ptr 1
		.amdhsa_user_sgpr_dispatch_id 0
		.amdhsa_user_sgpr_private_segment_size 0
		.amdhsa_wavefront_size32 1
		.amdhsa_uses_dynamic_stack 0
		.amdhsa_enable_private_segment 0
		.amdhsa_system_sgpr_workgroup_id_x 1
		.amdhsa_system_sgpr_workgroup_id_y 0
		.amdhsa_system_sgpr_workgroup_id_z 0
		.amdhsa_system_sgpr_workgroup_info 0
		.amdhsa_system_vgpr_workitem_id 0
		.amdhsa_next_free_vgpr 11
		.amdhsa_next_free_sgpr 28
		.amdhsa_reserve_vcc 1
		.amdhsa_float_round_mode_32 0
		.amdhsa_float_round_mode_16_64 0
		.amdhsa_float_denorm_mode_32 3
		.amdhsa_float_denorm_mode_16_64 3
		.amdhsa_dx10_clamp 1
		.amdhsa_ieee_mode 1
		.amdhsa_fp16_overflow 0
		.amdhsa_workgroup_processor_mode 1
		.amdhsa_memory_ordered 1
		.amdhsa_forward_progress 0
		.amdhsa_shared_vgpr_count 0
		.amdhsa_exception_fp_ieee_invalid_op 0
		.amdhsa_exception_fp_denorm_src 0
		.amdhsa_exception_fp_ieee_div_zero 0
		.amdhsa_exception_fp_ieee_overflow 0
		.amdhsa_exception_fp_ieee_underflow 0
		.amdhsa_exception_fp_ieee_inexact 0
		.amdhsa_exception_int_div_zero 0
	.end_amdhsa_kernel
	.section	.text._ZL19k_bin_bcast_unravelIXadL_ZL6op_addffEE6__halfffJPKfS2_S2_EEvPKT0_PKT1_PT2_15HIP_vector_typeIjLj3EESC_SC_jSC_SC_SC_SC_SC_SC_iiiiiiiiiiiDpT3_,"axG",@progbits,_ZL19k_bin_bcast_unravelIXadL_ZL6op_addffEE6__halfffJPKfS2_S2_EEvPKT0_PKT1_PT2_15HIP_vector_typeIjLj3EESC_SC_jSC_SC_SC_SC_SC_SC_iiiiiiiiiiiDpT3_,comdat
.Lfunc_end54:
	.size	_ZL19k_bin_bcast_unravelIXadL_ZL6op_addffEE6__halfffJPKfS2_S2_EEvPKT0_PKT1_PT2_15HIP_vector_typeIjLj3EESC_SC_jSC_SC_SC_SC_SC_SC_iiiiiiiiiiiDpT3_, .Lfunc_end54-_ZL19k_bin_bcast_unravelIXadL_ZL6op_addffEE6__halfffJPKfS2_S2_EEvPKT0_PKT1_PT2_15HIP_vector_typeIjLj3EESC_SC_jSC_SC_SC_SC_SC_SC_iiiiiiiiiiiDpT3_
                                        ; -- End function
	.section	.AMDGPU.csdata,"",@progbits
; Kernel info:
; codeLenInByte = 884
; NumSgprs: 30
; NumVgprs: 11
; ScratchSize: 0
; MemoryBound: 0
; FloatMode: 240
; IeeeMode: 1
; LDSByteSize: 0 bytes/workgroup (compile time only)
; SGPRBlocks: 3
; VGPRBlocks: 1
; NumSGPRsForWavesPerEU: 30
; NumVGPRsForWavesPerEU: 11
; Occupancy: 16
; WaveLimiterHint : 1
; COMPUTE_PGM_RSRC2:SCRATCH_EN: 0
; COMPUTE_PGM_RSRC2:USER_SGPR: 15
; COMPUTE_PGM_RSRC2:TRAP_HANDLER: 0
; COMPUTE_PGM_RSRC2:TGID_X_EN: 1
; COMPUTE_PGM_RSRC2:TGID_Y_EN: 0
; COMPUTE_PGM_RSRC2:TGID_Z_EN: 0
; COMPUTE_PGM_RSRC2:TIDIG_COMP_CNT: 0
	.section	.text._ZL11k_bin_bcastIXadL_ZL6op_addffEE6__halfffJPKfS2_S2_EEvPKT0_PKT1_PT2_iii15HIP_vector_typeIjLj3EESC_SC_SC_SC_iiiiiiiiiiiDpT3_,"axG",@progbits,_ZL11k_bin_bcastIXadL_ZL6op_addffEE6__halfffJPKfS2_S2_EEvPKT0_PKT1_PT2_iii15HIP_vector_typeIjLj3EESC_SC_SC_SC_iiiiiiiiiiiDpT3_,comdat
	.globl	_ZL11k_bin_bcastIXadL_ZL6op_addffEE6__halfffJPKfS2_S2_EEvPKT0_PKT1_PT2_iii15HIP_vector_typeIjLj3EESC_SC_SC_SC_iiiiiiiiiiiDpT3_ ; -- Begin function _ZL11k_bin_bcastIXadL_ZL6op_addffEE6__halfffJPKfS2_S2_EEvPKT0_PKT1_PT2_iii15HIP_vector_typeIjLj3EESC_SC_SC_SC_iiiiiiiiiiiDpT3_
	.p2align	8
	.type	_ZL11k_bin_bcastIXadL_ZL6op_addffEE6__halfffJPKfS2_S2_EEvPKT0_PKT1_PT2_iii15HIP_vector_typeIjLj3EESC_SC_SC_SC_iiiiiiiiiiiDpT3_,@function
_ZL11k_bin_bcastIXadL_ZL6op_addffEE6__halfffJPKfS2_S2_EEvPKT0_PKT1_PT2_iii15HIP_vector_typeIjLj3EESC_SC_SC_SC_iiiiiiiiiiiDpT3_: ; @_ZL11k_bin_bcastIXadL_ZL6op_addffEE6__halfffJPKfS2_S2_EEvPKT0_PKT1_PT2_iii15HIP_vector_typeIjLj3EESC_SC_SC_SC_iiiiiiiiiiiDpT3_
; %bb.0:
	s_clause 0x1
	s_load_b64 s[2:3], s[0:1], 0xb4
	s_load_b256 s[16:23], s[0:1], 0x18
	v_bfe_u32 v1, v0, 20, 10
	s_add_u32 s34, s0, 0xa8
	s_addc_u32 s35, s1, 0
	s_waitcnt lgkmcnt(0)
	s_and_b32 s3, s3, 0xffff
	s_and_b32 s12, s2, 0xffff
	v_mad_u64_u32 v[4:5], null, s15, s3, v[1:2]
	v_and_b32_e32 v2, 0x3ff, v0
	v_bfe_u32 v5, v0, 10, 10
	s_lshr_b32 s3, s2, 16
	s_delay_alu instid0(VALU_DEP_3) | instskip(NEXT) | instid1(VALU_DEP_1)
	v_mul_hi_u32 v1, v4, s19
	v_add_nc_u32_e32 v1, v4, v1
	s_delay_alu instid0(VALU_DEP_1) | instskip(NEXT) | instid1(VALU_DEP_1)
	v_lshrrev_b32_e32 v3, s20, v1
	v_mul_lo_u32 v6, v3, s21
	v_mad_u64_u32 v[0:1], null, s13, s12, v[2:3]
	s_delay_alu instid0(VALU_DEP_2) | instskip(SKIP_1) | instid1(VALU_DEP_3)
	v_mad_u64_u32 v[1:2], null, s14, s3, v[5:6]
	v_sub_nc_u32_e32 v4, v4, v6
	v_cmp_gt_u32_e32 vcc_lo, s16, v0
	v_cmp_gt_u32_e64 s3, s18, v3
	s_delay_alu instid0(VALU_DEP_3) | instskip(SKIP_1) | instid1(VALU_DEP_1)
	v_cmp_gt_u32_e64 s4, s21, v4
	v_cmp_gt_u32_e64 s2, s17, v1
	s_and_b32 s2, vcc_lo, s2
	s_delay_alu instid0(VALU_DEP_3) | instid1(SALU_CYCLE_1)
	s_and_b32 s2, s2, s3
	s_delay_alu instid0(VALU_DEP_2) | instid1(SALU_CYCLE_1)
	s_and_b32 s2, s2, s4
	s_delay_alu instid0(SALU_CYCLE_1)
	s_and_saveexec_b32 s3, s2
	s_cbranch_execz .LBB55_6
; %bb.1:
	v_cmp_gt_i32_e32 vcc_lo, s16, v0
	s_and_b32 exec_lo, exec_lo, vcc_lo
	s_cbranch_execz .LBB55_6
; %bb.2:
	s_clause 0x2
	s_load_b256 s[36:43], s[0:1], 0x3c
	s_load_b256 s[4:11], s[0:1], 0x60
	s_load_b256 s[24:31], s[0:1], 0x80
	s_load_b32 s13, s[34:35], 0x0
	s_clause 0x1
	s_load_b32 s2, s[0:1], 0x5c
	s_load_b64 s[14:15], s[0:1], 0x0
	s_waitcnt lgkmcnt(0)
	v_mul_hi_u32 v2, s36, v1
	v_mul_hi_u32 v5, s39, v3
	;; [unrolled: 1-line block ×3, first 2 shown]
	v_mul_lo_u32 v9, v4, s10
	v_mul_lo_u32 v10, v3, s9
	;; [unrolled: 1-line block ×3, first 2 shown]
	v_mov_b32_e32 v6, 0
	v_mul_lo_u32 v13, v3, s5
	v_add_nc_u32_e32 v2, v1, v2
	v_add_nc_u32_e32 v5, v3, v5
	s_delay_alu instid0(VALU_DEP_4) | instskip(SKIP_1) | instid1(VALU_DEP_4)
	v_dual_mov_b32 v8, v6 :: v_dual_add_nc_u32 v7, v4, v7
	v_mul_lo_u32 v14, v1, s4
	v_lshrrev_b32_e32 v2, s37, v2
	s_delay_alu instid0(VALU_DEP_4) | instskip(NEXT) | instid1(VALU_DEP_4)
	v_lshrrev_b32_e32 v15, s40, v5
	v_lshrrev_b32_e32 v16, s43, v7
	s_clause 0x1
	s_load_b32 s8, s[0:1], 0x38
	s_load_b64 s[4:5], s[0:1], 0x10
	v_add3_u32 v5, v10, v11, v9
	v_mul_lo_u32 v12, v4, s6
	v_mul_lo_u32 v9, v2, s38
	;; [unrolled: 1-line block ×4, first 2 shown]
	v_lshlrev_b64 v[5:6], 1, v[5:6]
	s_load_b64 s[2:3], s[0:1], 0xa0
	s_cmp_lg_u64 s[14:15], 0
	v_mul_lo_u32 v2, s7, v0
	v_add3_u32 v7, v13, v14, v12
	v_sub_nc_u32_e32 v1, v1, v9
	v_sub_nc_u32_e32 v3, v3, v10
	;; [unrolled: 1-line block ×3, first 2 shown]
	v_add_co_u32 v9, vcc_lo, s14, v5
	v_add_co_ci_u32_e32 v5, vcc_lo, s15, v6, vcc_lo
	v_lshlrev_b64 v[7:8], 2, v[7:8]
	s_delay_alu instid0(VALU_DEP_4)
	v_mul_lo_u32 v10, v4, s26
	v_mul_lo_u32 v3, v3, s25
	;; [unrolled: 1-line block ×3, first 2 shown]
	s_cselect_b32 vcc_lo, -1, 0
	v_cndmask_b32_e32 v5, 0, v5, vcc_lo
	v_cndmask_b32_e32 v4, 0, v9, vcc_lo
	s_waitcnt lgkmcnt(0)
	v_add_co_u32 v6, vcc_lo, s4, v7
	v_add_co_ci_u32_e32 v7, vcc_lo, s5, v8, vcc_lo
	s_delay_alu instid0(VALU_DEP_3)
	v_cmp_ne_u64_e32 vcc_lo, 0, v[4:5]
	v_add3_u32 v8, v3, v10, v1
	s_mul_i32 s4, s13, s12
	s_mov_b32 s5, 0
	s_mul_i32 s6, s4, s7
	s_sub_i32 s7, 0, s8
	s_branch .LBB55_4
.LBB55_3:                               ;   in Loop: Header=BB55_4 Depth=1
	s_or_b32 exec_lo, exec_lo, s1
	v_mul_hi_u32 v1, s22, v0
	v_add_nc_u32_e32 v2, s6, v2
	s_delay_alu instid0(VALU_DEP_2) | instskip(NEXT) | instid1(VALU_DEP_1)
	v_add_nc_u32_e32 v1, v0, v1
	v_lshrrev_b32_e32 v1, s23, v1
	s_delay_alu instid0(VALU_DEP_1) | instskip(NEXT) | instid1(VALU_DEP_1)
	v_mad_u64_u32 v[9:10], null, s7, v1, v[0:1]
	v_mul_lo_u32 v1, v9, s11
	s_delay_alu instid0(VALU_DEP_1) | instskip(NEXT) | instid1(VALU_DEP_1)
	v_add_co_u32 v9, s0, v1, v8
	v_add_co_ci_u32_e64 v10, null, 0, 0, s0
	v_ashrrev_i32_e32 v1, 31, v0
	s_delay_alu instid0(VALU_DEP_2) | instskip(NEXT) | instid1(VALU_DEP_1)
	v_lshlrev_b64 v[9:10], 2, v[9:10]
	v_add_co_u32 v11, s0, s28, v9
	s_delay_alu instid0(VALU_DEP_1) | instskip(SKIP_1) | instid1(VALU_DEP_1)
	v_add_co_ci_u32_e64 v12, s0, s29, v10, s0
	v_add_co_u32 v13, s0, s30, v9
	v_add_co_ci_u32_e64 v14, s0, s31, v10, s0
	global_load_b32 v11, v[11:12], off
	v_add_co_u32 v9, s0, s2, v9
	s_delay_alu instid0(VALU_DEP_1) | instskip(SKIP_4) | instid1(VALU_DEP_1)
	v_add_co_ci_u32_e64 v10, s0, s3, v10, s0
	global_load_b32 v12, v[13:14], off
	global_load_b32 v13, v[9:10], off
	v_lshlrev_b64 v[9:10], 2, v[0:1]
	v_add_nc_u32_e32 v0, s4, v0
	v_cmp_le_i32_e64 s0, s16, v0
	s_delay_alu instid0(VALU_DEP_3) | instskip(NEXT) | instid1(VALU_DEP_1)
	v_add_co_u32 v9, s1, v6, v9
	v_add_co_ci_u32_e64 v10, s1, v7, v10, s1
	s_delay_alu instid0(VALU_DEP_3) | instskip(SKIP_3) | instid1(VALU_DEP_1)
	s_or_b32 s5, s0, s5
	s_waitcnt vmcnt(2)
	v_add_f32_e32 v3, v3, v11
	s_waitcnt vmcnt(1)
	v_add_f32_e32 v1, v3, v12
	s_waitcnt vmcnt(0)
	s_delay_alu instid0(VALU_DEP_1)
	v_add_f32_e32 v1, v1, v13
	global_store_b32 v[9:10], v1, off
	s_and_not1_b32 exec_lo, exec_lo, s5
	s_cbranch_execz .LBB55_6
.LBB55_4:                               ; =>This Inner Loop Header: Depth=1
	v_mov_b32_e32 v3, 0
	s_and_saveexec_b32 s1, vcc_lo
	s_cbranch_execz .LBB55_3
; %bb.5:                                ;   in Loop: Header=BB55_4 Depth=1
	v_ashrrev_i32_e32 v3, 31, v2
	s_delay_alu instid0(VALU_DEP_1) | instskip(NEXT) | instid1(VALU_DEP_1)
	v_lshlrev_b64 v[9:10], 1, v[2:3]
	v_add_co_u32 v9, s0, v4, v9
	s_delay_alu instid0(VALU_DEP_1)
	v_add_co_ci_u32_e64 v10, s0, v5, v10, s0
	global_load_u16 v1, v[9:10], off
	s_waitcnt vmcnt(0)
	v_cvt_f32_f16_e32 v3, v1
	s_branch .LBB55_3
.LBB55_6:
	s_nop 0
	s_sendmsg sendmsg(MSG_DEALLOC_VGPRS)
	s_endpgm
	.section	.rodata,"a",@progbits
	.p2align	6, 0x0
	.amdhsa_kernel _ZL11k_bin_bcastIXadL_ZL6op_addffEE6__halfffJPKfS2_S2_EEvPKT0_PKT1_PT2_iii15HIP_vector_typeIjLj3EESC_SC_SC_SC_iiiiiiiiiiiDpT3_
		.amdhsa_group_segment_fixed_size 0
		.amdhsa_private_segment_fixed_size 0
		.amdhsa_kernarg_size 424
		.amdhsa_user_sgpr_count 13
		.amdhsa_user_sgpr_dispatch_ptr 0
		.amdhsa_user_sgpr_queue_ptr 0
		.amdhsa_user_sgpr_kernarg_segment_ptr 1
		.amdhsa_user_sgpr_dispatch_id 0
		.amdhsa_user_sgpr_private_segment_size 0
		.amdhsa_wavefront_size32 1
		.amdhsa_uses_dynamic_stack 0
		.amdhsa_enable_private_segment 0
		.amdhsa_system_sgpr_workgroup_id_x 1
		.amdhsa_system_sgpr_workgroup_id_y 1
		.amdhsa_system_sgpr_workgroup_id_z 1
		.amdhsa_system_sgpr_workgroup_info 0
		.amdhsa_system_vgpr_workitem_id 2
		.amdhsa_next_free_vgpr 17
		.amdhsa_next_free_sgpr 44
		.amdhsa_reserve_vcc 1
		.amdhsa_float_round_mode_32 0
		.amdhsa_float_round_mode_16_64 0
		.amdhsa_float_denorm_mode_32 3
		.amdhsa_float_denorm_mode_16_64 3
		.amdhsa_dx10_clamp 1
		.amdhsa_ieee_mode 1
		.amdhsa_fp16_overflow 0
		.amdhsa_workgroup_processor_mode 1
		.amdhsa_memory_ordered 1
		.amdhsa_forward_progress 0
		.amdhsa_shared_vgpr_count 0
		.amdhsa_exception_fp_ieee_invalid_op 0
		.amdhsa_exception_fp_denorm_src 0
		.amdhsa_exception_fp_ieee_div_zero 0
		.amdhsa_exception_fp_ieee_overflow 0
		.amdhsa_exception_fp_ieee_underflow 0
		.amdhsa_exception_fp_ieee_inexact 0
		.amdhsa_exception_int_div_zero 0
	.end_amdhsa_kernel
	.section	.text._ZL11k_bin_bcastIXadL_ZL6op_addffEE6__halfffJPKfS2_S2_EEvPKT0_PKT1_PT2_iii15HIP_vector_typeIjLj3EESC_SC_SC_SC_iiiiiiiiiiiDpT3_,"axG",@progbits,_ZL11k_bin_bcastIXadL_ZL6op_addffEE6__halfffJPKfS2_S2_EEvPKT0_PKT1_PT2_iii15HIP_vector_typeIjLj3EESC_SC_SC_SC_iiiiiiiiiiiDpT3_,comdat
.Lfunc_end55:
	.size	_ZL11k_bin_bcastIXadL_ZL6op_addffEE6__halfffJPKfS2_S2_EEvPKT0_PKT1_PT2_iii15HIP_vector_typeIjLj3EESC_SC_SC_SC_iiiiiiiiiiiDpT3_, .Lfunc_end55-_ZL11k_bin_bcastIXadL_ZL6op_addffEE6__halfffJPKfS2_S2_EEvPKT0_PKT1_PT2_iii15HIP_vector_typeIjLj3EESC_SC_SC_SC_iiiiiiiiiiiDpT3_
                                        ; -- End function
	.section	.AMDGPU.csdata,"",@progbits
; Kernel info:
; codeLenInByte = 940
; NumSgprs: 46
; NumVgprs: 17
; ScratchSize: 0
; MemoryBound: 0
; FloatMode: 240
; IeeeMode: 1
; LDSByteSize: 0 bytes/workgroup (compile time only)
; SGPRBlocks: 5
; VGPRBlocks: 2
; NumSGPRsForWavesPerEU: 46
; NumVGPRsForWavesPerEU: 17
; Occupancy: 16
; WaveLimiterHint : 1
; COMPUTE_PGM_RSRC2:SCRATCH_EN: 0
; COMPUTE_PGM_RSRC2:USER_SGPR: 13
; COMPUTE_PGM_RSRC2:TRAP_HANDLER: 0
; COMPUTE_PGM_RSRC2:TGID_X_EN: 1
; COMPUTE_PGM_RSRC2:TGID_Y_EN: 1
; COMPUTE_PGM_RSRC2:TGID_Z_EN: 1
; COMPUTE_PGM_RSRC2:TIDIG_COMP_CNT: 2
	.section	.text._ZL19k_bin_bcast_unravelIXadL_ZL6op_addffEEfffJPKfS1_S1_S1_EEvPKT0_PKT1_PT2_15HIP_vector_typeIjLj3EESB_SB_jSB_SB_SB_SB_SB_SB_iiiiiiiiiiiDpT3_,"axG",@progbits,_ZL19k_bin_bcast_unravelIXadL_ZL6op_addffEEfffJPKfS1_S1_S1_EEvPKT0_PKT1_PT2_15HIP_vector_typeIjLj3EESB_SB_jSB_SB_SB_SB_SB_SB_iiiiiiiiiiiDpT3_,comdat
	.globl	_ZL19k_bin_bcast_unravelIXadL_ZL6op_addffEEfffJPKfS1_S1_S1_EEvPKT0_PKT1_PT2_15HIP_vector_typeIjLj3EESB_SB_jSB_SB_SB_SB_SB_SB_iiiiiiiiiiiDpT3_ ; -- Begin function _ZL19k_bin_bcast_unravelIXadL_ZL6op_addffEEfffJPKfS1_S1_S1_EEvPKT0_PKT1_PT2_15HIP_vector_typeIjLj3EESB_SB_jSB_SB_SB_SB_SB_SB_iiiiiiiiiiiDpT3_
	.p2align	8
	.type	_ZL19k_bin_bcast_unravelIXadL_ZL6op_addffEEfffJPKfS1_S1_S1_EEvPKT0_PKT1_PT2_15HIP_vector_typeIjLj3EESB_SB_jSB_SB_SB_SB_SB_SB_iiiiiiiiiiiDpT3_,@function
_ZL19k_bin_bcast_unravelIXadL_ZL6op_addffEEfffJPKfS1_S1_S1_EEvPKT0_PKT1_PT2_15HIP_vector_typeIjLj3EESB_SB_jSB_SB_SB_SB_SB_SB_iiiiiiiiiiiDpT3_: ; @_ZL19k_bin_bcast_unravelIXadL_ZL6op_addffEEfffJPKfS1_S1_S1_EEvPKT0_PKT1_PT2_15HIP_vector_typeIjLj3EESB_SB_jSB_SB_SB_SB_SB_SB_iiiiiiiiiiiDpT3_
; %bb.0:
	s_clause 0x1
	s_load_b32 s2, s[0:1], 0xe4
	s_load_b256 s[4:11], s[0:1], 0x38
	s_waitcnt lgkmcnt(0)
	s_and_b32 s2, s2, 0xffff
	s_delay_alu instid0(SALU_CYCLE_1) | instskip(SKIP_3) | instid1(VALU_DEP_1)
	v_mad_u64_u32 v[2:3], null, s15, s2, v[0:1]
	s_clause 0x1
	s_load_b128 s[12:15], s[0:1], 0x18
	s_load_b32 s2, s[0:1], 0x2c
	v_mul_hi_u32 v0, v2, s6
	s_delay_alu instid0(VALU_DEP_1) | instskip(NEXT) | instid1(VALU_DEP_1)
	v_add_nc_u32_e32 v0, v2, v0
	v_lshrrev_b32_e32 v1, s7, v0
	s_delay_alu instid0(VALU_DEP_1) | instskip(NEXT) | instid1(VALU_DEP_1)
	v_mul_lo_u32 v0, v1, s8
	v_sub_nc_u32_e32 v0, v2, v0
	s_delay_alu instid0(VALU_DEP_1) | instskip(NEXT) | instid1(VALU_DEP_1)
	v_mul_hi_u32 v2, v0, s9
	v_add_nc_u32_e32 v2, v0, v2
	s_delay_alu instid0(VALU_DEP_1) | instskip(NEXT) | instid1(VALU_DEP_1)
	v_lshrrev_b32_e32 v2, s10, v2
	v_mul_lo_u32 v3, v2, s11
	v_cmp_gt_u32_e64 s3, s4, v2
	v_cmp_gt_u32_e64 s4, s5, v1
	s_delay_alu instid0(VALU_DEP_3) | instskip(SKIP_1) | instid1(VALU_DEP_1)
	v_sub_nc_u32_e32 v0, v0, v3
	s_waitcnt lgkmcnt(0)
	v_mul_hi_u32 v3, v0, s12
	s_delay_alu instid0(VALU_DEP_1) | instskip(NEXT) | instid1(VALU_DEP_1)
	v_add_nc_u32_e32 v3, v0, v3
	v_lshrrev_b32_e32 v3, s13, v3
	s_delay_alu instid0(VALU_DEP_1) | instskip(SKIP_1) | instid1(VALU_DEP_2)
	v_mul_lo_u32 v4, v3, s14
	v_cmp_gt_u32_e64 s2, s2, v3
	v_sub_nc_u32_e32 v0, v0, v4
	s_delay_alu instid0(VALU_DEP_1) | instskip(NEXT) | instid1(VALU_DEP_3)
	v_cmp_gt_u32_e32 vcc_lo, s14, v0
	s_and_b32 s2, vcc_lo, s2
	s_delay_alu instid0(SALU_CYCLE_1) | instskip(NEXT) | instid1(SALU_CYCLE_1)
	s_and_b32 s2, s2, s3
	s_and_b32 s2, s4, s2
	s_delay_alu instid0(SALU_CYCLE_1)
	s_and_saveexec_b32 s3, s2
	s_cbranch_execz .LBB56_5
; %bb.1:
	s_clause 0x4
	s_load_b64 s[2:3], s[0:1], 0x0
	s_load_b128 s[20:23], s[0:1], 0xa8
	s_load_b256 s[4:11], s[0:1], 0x88
	s_load_b128 s[24:27], s[0:1], 0x78
	s_load_b256 s[12:19], s[0:1], 0x58
	s_waitcnt lgkmcnt(0)
	s_cmp_eq_u64 s[2:3], 0
	s_cbranch_scc1 .LBB56_3
; %bb.2:
	v_mul_lo_u32 v4, v1, s10
	v_mul_lo_u32 v6, v2, s9
	;; [unrolled: 1-line block ×3, first 2 shown]
	v_mov_b32_e32 v5, 0
	s_delay_alu instid0(VALU_DEP_2) | instskip(NEXT) | instid1(VALU_DEP_1)
	v_add3_u32 v4, v6, v4, v7
	v_lshlrev_b64 v[6:7], 2, v[4:5]
	v_mul_lo_u32 v4, v0, s7
	s_delay_alu instid0(VALU_DEP_2) | instskip(NEXT) | instid1(VALU_DEP_3)
	v_add_co_u32 v6, vcc_lo, s2, v6
	v_add_co_ci_u32_e32 v7, vcc_lo, s3, v7, vcc_lo
	s_delay_alu instid0(VALU_DEP_3) | instskip(NEXT) | instid1(VALU_DEP_1)
	v_lshlrev_b64 v[4:5], 2, v[4:5]
	v_add_co_u32 v4, vcc_lo, v6, v4
	s_delay_alu instid0(VALU_DEP_2)
	v_add_co_ci_u32_e32 v5, vcc_lo, v7, v5, vcc_lo
	global_load_b32 v4, v[4:5], off
	s_branch .LBB56_4
.LBB56_3:
	v_mov_b32_e32 v4, 0
.LBB56_4:
	v_mul_hi_u32 v5, s25, v1
	v_mul_hi_u32 v6, s18, v2
	;; [unrolled: 1-line block ×4, first 2 shown]
	s_delay_alu instid0(VALU_DEP_4) | instskip(NEXT) | instid1(VALU_DEP_4)
	v_add_nc_u32_e32 v5, v1, v5
	v_add_nc_u32_e32 v6, v2, v6
	s_delay_alu instid0(VALU_DEP_4) | instskip(NEXT) | instid1(VALU_DEP_4)
	v_add_nc_u32_e32 v7, v3, v7
	v_add_nc_u32_e32 v8, v0, v8
	s_delay_alu instid0(VALU_DEP_4) | instskip(NEXT) | instid1(VALU_DEP_4)
	v_lshrrev_b32_e32 v5, s26, v5
	v_lshrrev_b32_e32 v6, s19, v6
	s_delay_alu instid0(VALU_DEP_4) | instskip(NEXT) | instid1(VALU_DEP_4)
	v_lshrrev_b32_e32 v7, s16, v7
	v_lshrrev_b32_e32 v8, s13, v8
	s_delay_alu instid0(VALU_DEP_4) | instskip(NEXT) | instid1(VALU_DEP_4)
	v_mul_lo_u32 v5, v5, s27
	v_mul_lo_u32 v6, v6, s24
	s_delay_alu instid0(VALU_DEP_4) | instskip(NEXT) | instid1(VALU_DEP_4)
	v_mul_lo_u32 v7, v7, s17
	v_mul_lo_u32 v8, v8, s14
	s_delay_alu instid0(VALU_DEP_4) | instskip(NEXT) | instid1(VALU_DEP_4)
	v_sub_nc_u32_e32 v5, v1, v5
	v_sub_nc_u32_e32 v6, v2, v6
	s_delay_alu instid0(VALU_DEP_4) | instskip(NEXT) | instid1(VALU_DEP_4)
	v_sub_nc_u32_e32 v7, v3, v7
	v_sub_nc_u32_e32 v8, v0, v8
	v_mul_lo_u32 v1, v1, s6
	v_mul_lo_u32 v5, v5, s22
	;; [unrolled: 1-line block ×5, first 2 shown]
	s_clause 0x1
	s_load_b256 s[8:15], s[0:1], 0xb8
	s_load_b64 s[0:1], s[0:1], 0x10
	v_mul_lo_u32 v2, v2, s5
	s_delay_alu instid0(VALU_DEP_3) | instskip(NEXT) | instid1(VALU_DEP_3)
	v_add3_u32 v5, v6, v5, v7
	v_ashrrev_i32_e32 v6, 31, v8
	s_delay_alu instid0(VALU_DEP_2) | instskip(SKIP_1) | instid1(VALU_DEP_2)
	v_ashrrev_i32_e32 v7, 31, v5
	v_add_co_u32 v5, vcc_lo, v8, v5
	v_add_co_ci_u32_e32 v6, vcc_lo, v6, v7, vcc_lo
	s_delay_alu instid0(VALU_DEP_1) | instskip(SKIP_1) | instid1(VALU_DEP_1)
	v_lshlrev_b64 v[5:6], 2, v[5:6]
	s_waitcnt lgkmcnt(0)
	v_add_co_u32 v7, vcc_lo, s8, v5
	s_delay_alu instid0(VALU_DEP_2)
	v_add_co_ci_u32_e32 v8, vcc_lo, s9, v6, vcc_lo
	v_add_co_u32 v9, vcc_lo, s10, v5
	v_add_co_ci_u32_e32 v10, vcc_lo, s11, v6, vcc_lo
	global_load_b32 v11, v[7:8], off
	v_add_co_u32 v7, vcc_lo, s12, v5
	v_add_co_ci_u32_e32 v8, vcc_lo, s13, v6, vcc_lo
	global_load_b32 v9, v[9:10], off
	;; [unrolled: 3-line block ×3, first 2 shown]
	global_load_b32 v5, v[5:6], off
	v_mul_lo_u32 v6, v3, s4
	v_mov_b32_e32 v3, 0
	s_delay_alu instid0(VALU_DEP_2) | instskip(NEXT) | instid1(VALU_DEP_2)
	v_add3_u32 v2, v2, v1, v6
	v_mov_b32_e32 v1, v3
	s_delay_alu instid0(VALU_DEP_2) | instskip(NEXT) | instid1(VALU_DEP_2)
	v_lshlrev_b64 v[2:3], 2, v[2:3]
	v_lshlrev_b64 v[0:1], 2, v[0:1]
	s_delay_alu instid0(VALU_DEP_2) | instskip(NEXT) | instid1(VALU_DEP_3)
	v_add_co_u32 v2, vcc_lo, s0, v2
	v_add_co_ci_u32_e32 v3, vcc_lo, s1, v3, vcc_lo
	s_delay_alu instid0(VALU_DEP_2) | instskip(NEXT) | instid1(VALU_DEP_2)
	v_add_co_u32 v0, vcc_lo, v2, v0
	v_add_co_ci_u32_e32 v1, vcc_lo, v3, v1, vcc_lo
	s_waitcnt vmcnt(3)
	v_add_f32_e32 v4, v4, v11
	s_waitcnt vmcnt(2)
	s_delay_alu instid0(VALU_DEP_1) | instskip(SKIP_1) | instid1(VALU_DEP_1)
	v_add_f32_e32 v4, v4, v9
	s_waitcnt vmcnt(1)
	v_add_f32_e32 v4, v4, v7
	s_waitcnt vmcnt(0)
	s_delay_alu instid0(VALU_DEP_1)
	v_add_f32_e32 v4, v4, v5
	global_store_b32 v[0:1], v4, off
.LBB56_5:
	s_nop 0
	s_sendmsg sendmsg(MSG_DEALLOC_VGPRS)
	s_endpgm
	.section	.rodata,"a",@progbits
	.p2align	6, 0x0
	.amdhsa_kernel _ZL19k_bin_bcast_unravelIXadL_ZL6op_addffEEfffJPKfS1_S1_S1_EEvPKT0_PKT1_PT2_15HIP_vector_typeIjLj3EESB_SB_jSB_SB_SB_SB_SB_SB_iiiiiiiiiiiDpT3_
		.amdhsa_group_segment_fixed_size 0
		.amdhsa_private_segment_fixed_size 0
		.amdhsa_kernarg_size 472
		.amdhsa_user_sgpr_count 15
		.amdhsa_user_sgpr_dispatch_ptr 0
		.amdhsa_user_sgpr_queue_ptr 0
		.amdhsa_user_sgpr_kernarg_segment_ptr 1
		.amdhsa_user_sgpr_dispatch_id 0
		.amdhsa_user_sgpr_private_segment_size 0
		.amdhsa_wavefront_size32 1
		.amdhsa_uses_dynamic_stack 0
		.amdhsa_enable_private_segment 0
		.amdhsa_system_sgpr_workgroup_id_x 1
		.amdhsa_system_sgpr_workgroup_id_y 0
		.amdhsa_system_sgpr_workgroup_id_z 0
		.amdhsa_system_sgpr_workgroup_info 0
		.amdhsa_system_vgpr_workitem_id 0
		.amdhsa_next_free_vgpr 12
		.amdhsa_next_free_sgpr 28
		.amdhsa_reserve_vcc 1
		.amdhsa_float_round_mode_32 0
		.amdhsa_float_round_mode_16_64 0
		.amdhsa_float_denorm_mode_32 3
		.amdhsa_float_denorm_mode_16_64 3
		.amdhsa_dx10_clamp 1
		.amdhsa_ieee_mode 1
		.amdhsa_fp16_overflow 0
		.amdhsa_workgroup_processor_mode 1
		.amdhsa_memory_ordered 1
		.amdhsa_forward_progress 0
		.amdhsa_shared_vgpr_count 0
		.amdhsa_exception_fp_ieee_invalid_op 0
		.amdhsa_exception_fp_denorm_src 0
		.amdhsa_exception_fp_ieee_div_zero 0
		.amdhsa_exception_fp_ieee_overflow 0
		.amdhsa_exception_fp_ieee_underflow 0
		.amdhsa_exception_fp_ieee_inexact 0
		.amdhsa_exception_int_div_zero 0
	.end_amdhsa_kernel
	.section	.text._ZL19k_bin_bcast_unravelIXadL_ZL6op_addffEEfffJPKfS1_S1_S1_EEvPKT0_PKT1_PT2_15HIP_vector_typeIjLj3EESB_SB_jSB_SB_SB_SB_SB_SB_iiiiiiiiiiiDpT3_,"axG",@progbits,_ZL19k_bin_bcast_unravelIXadL_ZL6op_addffEEfffJPKfS1_S1_S1_EEvPKT0_PKT1_PT2_15HIP_vector_typeIjLj3EESB_SB_jSB_SB_SB_SB_SB_SB_iiiiiiiiiiiDpT3_,comdat
.Lfunc_end56:
	.size	_ZL19k_bin_bcast_unravelIXadL_ZL6op_addffEEfffJPKfS1_S1_S1_EEvPKT0_PKT1_PT2_15HIP_vector_typeIjLj3EESB_SB_jSB_SB_SB_SB_SB_SB_iiiiiiiiiiiDpT3_, .Lfunc_end56-_ZL19k_bin_bcast_unravelIXadL_ZL6op_addffEEfffJPKfS1_S1_S1_EEvPKT0_PKT1_PT2_15HIP_vector_typeIjLj3EESB_SB_jSB_SB_SB_SB_SB_SB_iiiiiiiiiiiDpT3_
                                        ; -- End function
	.section	.AMDGPU.csdata,"",@progbits
; Kernel info:
; codeLenInByte = 900
; NumSgprs: 30
; NumVgprs: 12
; ScratchSize: 0
; MemoryBound: 0
; FloatMode: 240
; IeeeMode: 1
; LDSByteSize: 0 bytes/workgroup (compile time only)
; SGPRBlocks: 3
; VGPRBlocks: 1
; NumSGPRsForWavesPerEU: 30
; NumVGPRsForWavesPerEU: 12
; Occupancy: 16
; WaveLimiterHint : 1
; COMPUTE_PGM_RSRC2:SCRATCH_EN: 0
; COMPUTE_PGM_RSRC2:USER_SGPR: 15
; COMPUTE_PGM_RSRC2:TRAP_HANDLER: 0
; COMPUTE_PGM_RSRC2:TGID_X_EN: 1
; COMPUTE_PGM_RSRC2:TGID_Y_EN: 0
; COMPUTE_PGM_RSRC2:TGID_Z_EN: 0
; COMPUTE_PGM_RSRC2:TIDIG_COMP_CNT: 0
	.section	.text._ZL11k_bin_bcastIXadL_ZL6op_addffEEfffJPKfS1_S1_S1_EEvPKT0_PKT1_PT2_iii15HIP_vector_typeIjLj3EESB_SB_SB_SB_iiiiiiiiiiiDpT3_,"axG",@progbits,_ZL11k_bin_bcastIXadL_ZL6op_addffEEfffJPKfS1_S1_S1_EEvPKT0_PKT1_PT2_iii15HIP_vector_typeIjLj3EESB_SB_SB_SB_iiiiiiiiiiiDpT3_,comdat
	.globl	_ZL11k_bin_bcastIXadL_ZL6op_addffEEfffJPKfS1_S1_S1_EEvPKT0_PKT1_PT2_iii15HIP_vector_typeIjLj3EESB_SB_SB_SB_iiiiiiiiiiiDpT3_ ; -- Begin function _ZL11k_bin_bcastIXadL_ZL6op_addffEEfffJPKfS1_S1_S1_EEvPKT0_PKT1_PT2_iii15HIP_vector_typeIjLj3EESB_SB_SB_SB_iiiiiiiiiiiDpT3_
	.p2align	8
	.type	_ZL11k_bin_bcastIXadL_ZL6op_addffEEfffJPKfS1_S1_S1_EEvPKT0_PKT1_PT2_iii15HIP_vector_typeIjLj3EESB_SB_SB_SB_iiiiiiiiiiiDpT3_,@function
_ZL11k_bin_bcastIXadL_ZL6op_addffEEfffJPKfS1_S1_S1_EEvPKT0_PKT1_PT2_iii15HIP_vector_typeIjLj3EESB_SB_SB_SB_iiiiiiiiiiiDpT3_: ; @_ZL11k_bin_bcastIXadL_ZL6op_addffEEfffJPKfS1_S1_S1_EEvPKT0_PKT1_PT2_iii15HIP_vector_typeIjLj3EESB_SB_SB_SB_iiiiiiiiiiiDpT3_
; %bb.0:
	s_clause 0x1
	s_load_b64 s[2:3], s[0:1], 0xbc
	s_load_b256 s[16:23], s[0:1], 0x18
	v_bfe_u32 v1, v0, 20, 10
	s_add_u32 s34, s0, 0xb0
	s_addc_u32 s35, s1, 0
	s_waitcnt lgkmcnt(0)
	s_and_b32 s3, s3, 0xffff
	s_delay_alu instid0(SALU_CYCLE_1) | instskip(SKIP_3) | instid1(VALU_DEP_3)
	v_mad_u64_u32 v[4:5], null, s15, s3, v[1:2]
	v_and_b32_e32 v2, 0x3ff, v0
	v_bfe_u32 v5, v0, 10, 10
	s_lshr_b32 s3, s2, 16
	v_mul_hi_u32 v1, v4, s19
	s_and_b32 s19, s2, 0xffff
	s_delay_alu instid0(VALU_DEP_1) | instskip(NEXT) | instid1(VALU_DEP_1)
	v_add_nc_u32_e32 v1, v4, v1
	v_lshrrev_b32_e32 v3, s20, v1
	s_delay_alu instid0(VALU_DEP_1) | instskip(SKIP_1) | instid1(VALU_DEP_2)
	v_mul_lo_u32 v6, v3, s21
	v_mad_u64_u32 v[0:1], null, s13, s19, v[2:3]
	v_mad_u64_u32 v[1:2], null, s14, s3, v[5:6]
	v_sub_nc_u32_e32 v4, v4, v6
	s_delay_alu instid0(VALU_DEP_3) | instskip(SKIP_1) | instid1(VALU_DEP_3)
	v_cmp_gt_u32_e32 vcc_lo, s16, v0
	v_cmp_gt_u32_e64 s3, s18, v3
	v_cmp_gt_u32_e64 s4, s21, v4
	;; [unrolled: 1-line block ×3, first 2 shown]
	s_delay_alu instid0(VALU_DEP_1)
	s_and_b32 s2, vcc_lo, s2
	s_delay_alu instid0(VALU_DEP_3) | instid1(SALU_CYCLE_1)
	s_and_b32 s2, s2, s3
	s_delay_alu instid0(VALU_DEP_2) | instid1(SALU_CYCLE_1)
	s_and_b32 s2, s2, s4
	s_delay_alu instid0(SALU_CYCLE_1)
	s_and_saveexec_b32 s3, s2
	s_cbranch_execz .LBB57_6
; %bb.1:
	v_cmp_gt_i32_e32 vcc_lo, s16, v0
	s_and_b32 exec_lo, exec_lo, vcc_lo
	s_cbranch_execz .LBB57_6
; %bb.2:
	s_clause 0x2
	s_load_b256 s[24:31], s[0:1], 0x3c
	s_load_b256 s[4:11], s[0:1], 0x60
	s_load_b128 s[12:15], s[0:1], 0x80
	s_waitcnt lgkmcnt(0)
	s_load_b32 s15, s[34:35], 0x0
	s_clause 0x1
	s_load_b32 s17, s[0:1], 0x5c
	s_load_b64 s[2:3], s[0:1], 0x0
	v_mul_hi_u32 v2, s24, v1
	v_mul_hi_u32 v5, s27, v3
	;; [unrolled: 1-line block ×3, first 2 shown]
	v_mul_lo_u32 v9, v4, s10
	v_mul_lo_u32 v10, v3, s9
	;; [unrolled: 1-line block ×3, first 2 shown]
	v_mov_b32_e32 v6, 0
	v_mul_lo_u32 v12, v4, s6
	v_add_nc_u32_e32 v2, v1, v2
	v_add_nc_u32_e32 v5, v3, v5
	s_delay_alu instid0(VALU_DEP_4) | instskip(SKIP_1) | instid1(VALU_DEP_4)
	v_dual_mov_b32 v8, v6 :: v_dual_add_nc_u32 v7, v4, v7
	v_mul_lo_u32 v13, v3, s5
	v_lshrrev_b32_e32 v2, s25, v2
	s_delay_alu instid0(VALU_DEP_4) | instskip(NEXT) | instid1(VALU_DEP_4)
	v_lshrrev_b32_e32 v15, s28, v5
	v_lshrrev_b32_e32 v16, s31, v7
	v_mul_lo_u32 v14, v1, s4
	s_clause 0x1
	s_load_b32 s6, s[0:1], 0x38
	s_load_b64 s[4:5], s[0:1], 0x10
	v_add3_u32 v5, v10, v11, v9
	v_mul_lo_u32 v9, v2, s26
	v_mul_lo_u32 v10, v15, s29
	s_waitcnt lgkmcnt(0)
	v_mul_lo_u32 v11, v16, s17
	s_load_b256 s[24:31], s[0:1], 0x90
	v_lshlrev_b64 v[5:6], 2, v[5:6]
	v_add3_u32 v7, v13, v14, v12
	s_cmp_lg_u64 s[2:3], 0
	v_mul_lo_u32 v2, s7, v0
	v_sub_nc_u32_e32 v1, v1, v9
	v_sub_nc_u32_e32 v3, v3, v10
	;; [unrolled: 1-line block ×3, first 2 shown]
	v_add_co_u32 v9, vcc_lo, s2, v5
	v_add_co_ci_u32_e32 v5, vcc_lo, s3, v6, vcc_lo
	v_lshlrev_b64 v[7:8], 2, v[7:8]
	s_delay_alu instid0(VALU_DEP_4)
	v_mul_lo_u32 v10, v4, s14
	v_mul_lo_u32 v3, v3, s13
	;; [unrolled: 1-line block ×3, first 2 shown]
	s_cselect_b32 vcc_lo, -1, 0
	s_mul_i32 s2, s15, s19
	v_cndmask_b32_e32 v5, 0, v5, vcc_lo
	v_cndmask_b32_e32 v4, 0, v9, vcc_lo
	v_add_co_u32 v6, vcc_lo, s4, v7
	v_add_co_ci_u32_e32 v7, vcc_lo, s5, v8, vcc_lo
	s_delay_alu instid0(VALU_DEP_3)
	v_cmp_ne_u64_e32 vcc_lo, 0, v[4:5]
	v_add3_u32 v8, v3, v10, v1
	s_mov_b32 s3, 0
	s_mul_i32 s4, s2, s7
	s_sub_i32 s5, 0, s6
	s_branch .LBB57_4
.LBB57_3:                               ;   in Loop: Header=BB57_4 Depth=1
	s_or_b32 exec_lo, exec_lo, s1
	v_mul_hi_u32 v3, s22, v0
	v_add_nc_u32_e32 v2, s4, v2
	s_delay_alu instid0(VALU_DEP_2) | instskip(NEXT) | instid1(VALU_DEP_1)
	v_add_nc_u32_e32 v3, v0, v3
	v_lshrrev_b32_e32 v3, s23, v3
	s_waitcnt vmcnt(0)
	s_delay_alu instid0(VALU_DEP_1) | instskip(NEXT) | instid1(VALU_DEP_1)
	v_mad_u64_u32 v[9:10], null, s5, v3, v[0:1]
	v_mul_lo_u32 v3, v9, s11
	s_delay_alu instid0(VALU_DEP_1) | instskip(NEXT) | instid1(VALU_DEP_1)
	v_add_co_u32 v9, s0, v3, v8
	v_add_co_ci_u32_e64 v10, null, 0, 0, s0
	s_delay_alu instid0(VALU_DEP_1) | instskip(SKIP_1) | instid1(VALU_DEP_1)
	v_lshlrev_b64 v[9:10], 2, v[9:10]
	s_waitcnt lgkmcnt(0)
	v_add_co_u32 v11, s0, s24, v9
	s_delay_alu instid0(VALU_DEP_1) | instskip(SKIP_1) | instid1(VALU_DEP_1)
	v_add_co_ci_u32_e64 v12, s0, s25, v10, s0
	v_add_co_u32 v13, s0, s26, v9
	v_add_co_ci_u32_e64 v14, s0, s27, v10, s0
	global_load_b32 v3, v[11:12], off
	v_add_co_u32 v11, s0, s28, v9
	s_delay_alu instid0(VALU_DEP_1) | instskip(SKIP_2) | instid1(VALU_DEP_1)
	v_add_co_ci_u32_e64 v12, s0, s29, v10, s0
	global_load_b32 v13, v[13:14], off
	v_add_co_u32 v9, s0, s30, v9
	v_add_co_ci_u32_e64 v10, s0, s31, v10, s0
	global_load_b32 v11, v[11:12], off
	global_load_b32 v12, v[9:10], off
	s_waitcnt vmcnt(3)
	v_add_f32_e32 v3, v1, v3
	v_ashrrev_i32_e32 v1, 31, v0
	s_delay_alu instid0(VALU_DEP_1) | instskip(SKIP_1) | instid1(VALU_DEP_3)
	v_lshlrev_b64 v[9:10], 2, v[0:1]
	s_waitcnt vmcnt(2)
	v_dual_add_f32 v3, v3, v13 :: v_dual_add_nc_u32 v0, s2, v0
	s_delay_alu instid0(VALU_DEP_1) | instskip(SKIP_1) | instid1(VALU_DEP_2)
	v_cmp_le_i32_e64 s0, s16, v0
	s_waitcnt vmcnt(1)
	v_add_f32_e32 v1, v3, v11
	v_add_co_u32 v9, s1, v6, v9
	s_delay_alu instid0(VALU_DEP_1) | instskip(SKIP_1) | instid1(VALU_DEP_3)
	v_add_co_ci_u32_e64 v10, s1, v7, v10, s1
	s_waitcnt vmcnt(0)
	v_add_f32_e32 v1, v1, v12
	s_or_b32 s3, s0, s3
	global_store_b32 v[9:10], v1, off
	s_and_not1_b32 exec_lo, exec_lo, s3
	s_cbranch_execz .LBB57_6
.LBB57_4:                               ; =>This Inner Loop Header: Depth=1
	v_mov_b32_e32 v1, 0
	s_and_saveexec_b32 s1, vcc_lo
	s_cbranch_execz .LBB57_3
; %bb.5:                                ;   in Loop: Header=BB57_4 Depth=1
	v_ashrrev_i32_e32 v3, 31, v2
	s_delay_alu instid0(VALU_DEP_1) | instskip(NEXT) | instid1(VALU_DEP_1)
	v_lshlrev_b64 v[9:10], 2, v[2:3]
	v_add_co_u32 v9, s0, v4, v9
	s_delay_alu instid0(VALU_DEP_1)
	v_add_co_ci_u32_e64 v10, s0, v5, v10, s0
	global_load_b32 v1, v[9:10], off
	s_branch .LBB57_3
.LBB57_6:
	s_nop 0
	s_sendmsg sendmsg(MSG_DEALLOC_VGPRS)
	s_endpgm
	.section	.rodata,"a",@progbits
	.p2align	6, 0x0
	.amdhsa_kernel _ZL11k_bin_bcastIXadL_ZL6op_addffEEfffJPKfS1_S1_S1_EEvPKT0_PKT1_PT2_iii15HIP_vector_typeIjLj3EESB_SB_SB_SB_iiiiiiiiiiiDpT3_
		.amdhsa_group_segment_fixed_size 0
		.amdhsa_private_segment_fixed_size 0
		.amdhsa_kernarg_size 432
		.amdhsa_user_sgpr_count 13
		.amdhsa_user_sgpr_dispatch_ptr 0
		.amdhsa_user_sgpr_queue_ptr 0
		.amdhsa_user_sgpr_kernarg_segment_ptr 1
		.amdhsa_user_sgpr_dispatch_id 0
		.amdhsa_user_sgpr_private_segment_size 0
		.amdhsa_wavefront_size32 1
		.amdhsa_uses_dynamic_stack 0
		.amdhsa_enable_private_segment 0
		.amdhsa_system_sgpr_workgroup_id_x 1
		.amdhsa_system_sgpr_workgroup_id_y 1
		.amdhsa_system_sgpr_workgroup_id_z 1
		.amdhsa_system_sgpr_workgroup_info 0
		.amdhsa_system_vgpr_workitem_id 2
		.amdhsa_next_free_vgpr 17
		.amdhsa_next_free_sgpr 36
		.amdhsa_reserve_vcc 1
		.amdhsa_float_round_mode_32 0
		.amdhsa_float_round_mode_16_64 0
		.amdhsa_float_denorm_mode_32 3
		.amdhsa_float_denorm_mode_16_64 3
		.amdhsa_dx10_clamp 1
		.amdhsa_ieee_mode 1
		.amdhsa_fp16_overflow 0
		.amdhsa_workgroup_processor_mode 1
		.amdhsa_memory_ordered 1
		.amdhsa_forward_progress 0
		.amdhsa_shared_vgpr_count 0
		.amdhsa_exception_fp_ieee_invalid_op 0
		.amdhsa_exception_fp_denorm_src 0
		.amdhsa_exception_fp_ieee_div_zero 0
		.amdhsa_exception_fp_ieee_overflow 0
		.amdhsa_exception_fp_ieee_underflow 0
		.amdhsa_exception_fp_ieee_inexact 0
		.amdhsa_exception_int_div_zero 0
	.end_amdhsa_kernel
	.section	.text._ZL11k_bin_bcastIXadL_ZL6op_addffEEfffJPKfS1_S1_S1_EEvPKT0_PKT1_PT2_iii15HIP_vector_typeIjLj3EESB_SB_SB_SB_iiiiiiiiiiiDpT3_,"axG",@progbits,_ZL11k_bin_bcastIXadL_ZL6op_addffEEfffJPKfS1_S1_S1_EEvPKT0_PKT1_PT2_iii15HIP_vector_typeIjLj3EESB_SB_SB_SB_iiiiiiiiiiiDpT3_,comdat
.Lfunc_end57:
	.size	_ZL11k_bin_bcastIXadL_ZL6op_addffEEfffJPKfS1_S1_S1_EEvPKT0_PKT1_PT2_iii15HIP_vector_typeIjLj3EESB_SB_SB_SB_iiiiiiiiiiiDpT3_, .Lfunc_end57-_ZL11k_bin_bcastIXadL_ZL6op_addffEEfffJPKfS1_S1_S1_EEvPKT0_PKT1_PT2_iii15HIP_vector_typeIjLj3EESB_SB_SB_SB_iiiiiiiiiiiDpT3_
                                        ; -- End function
	.section	.AMDGPU.csdata,"",@progbits
; Kernel info:
; codeLenInByte = 976
; NumSgprs: 38
; NumVgprs: 17
; ScratchSize: 0
; MemoryBound: 0
; FloatMode: 240
; IeeeMode: 1
; LDSByteSize: 0 bytes/workgroup (compile time only)
; SGPRBlocks: 4
; VGPRBlocks: 2
; NumSGPRsForWavesPerEU: 38
; NumVGPRsForWavesPerEU: 17
; Occupancy: 16
; WaveLimiterHint : 1
; COMPUTE_PGM_RSRC2:SCRATCH_EN: 0
; COMPUTE_PGM_RSRC2:USER_SGPR: 13
; COMPUTE_PGM_RSRC2:TRAP_HANDLER: 0
; COMPUTE_PGM_RSRC2:TGID_X_EN: 1
; COMPUTE_PGM_RSRC2:TGID_Y_EN: 1
; COMPUTE_PGM_RSRC2:TGID_Z_EN: 1
; COMPUTE_PGM_RSRC2:TIDIG_COMP_CNT: 2
	.section	.text._ZL19k_bin_bcast_unravelIXadL_ZL6op_addffEE6__halfS0_S0_JPKS0_S2_S2_S2_EEvPKT0_PKT1_PT2_15HIP_vector_typeIjLj3EESC_SC_jSC_SC_SC_SC_SC_SC_iiiiiiiiiiiDpT3_,"axG",@progbits,_ZL19k_bin_bcast_unravelIXadL_ZL6op_addffEE6__halfS0_S0_JPKS0_S2_S2_S2_EEvPKT0_PKT1_PT2_15HIP_vector_typeIjLj3EESC_SC_jSC_SC_SC_SC_SC_SC_iiiiiiiiiiiDpT3_,comdat
	.globl	_ZL19k_bin_bcast_unravelIXadL_ZL6op_addffEE6__halfS0_S0_JPKS0_S2_S2_S2_EEvPKT0_PKT1_PT2_15HIP_vector_typeIjLj3EESC_SC_jSC_SC_SC_SC_SC_SC_iiiiiiiiiiiDpT3_ ; -- Begin function _ZL19k_bin_bcast_unravelIXadL_ZL6op_addffEE6__halfS0_S0_JPKS0_S2_S2_S2_EEvPKT0_PKT1_PT2_15HIP_vector_typeIjLj3EESC_SC_jSC_SC_SC_SC_SC_SC_iiiiiiiiiiiDpT3_
	.p2align	8
	.type	_ZL19k_bin_bcast_unravelIXadL_ZL6op_addffEE6__halfS0_S0_JPKS0_S2_S2_S2_EEvPKT0_PKT1_PT2_15HIP_vector_typeIjLj3EESC_SC_jSC_SC_SC_SC_SC_SC_iiiiiiiiiiiDpT3_,@function
_ZL19k_bin_bcast_unravelIXadL_ZL6op_addffEE6__halfS0_S0_JPKS0_S2_S2_S2_EEvPKT0_PKT1_PT2_15HIP_vector_typeIjLj3EESC_SC_jSC_SC_SC_SC_SC_SC_iiiiiiiiiiiDpT3_: ; @_ZL19k_bin_bcast_unravelIXadL_ZL6op_addffEE6__halfS0_S0_JPKS0_S2_S2_S2_EEvPKT0_PKT1_PT2_15HIP_vector_typeIjLj3EESC_SC_jSC_SC_SC_SC_SC_SC_iiiiiiiiiiiDpT3_
; %bb.0:
	s_clause 0x1
	s_load_b32 s2, s[0:1], 0xe4
	s_load_b256 s[4:11], s[0:1], 0x38
	s_waitcnt lgkmcnt(0)
	s_and_b32 s2, s2, 0xffff
	s_delay_alu instid0(SALU_CYCLE_1) | instskip(SKIP_3) | instid1(VALU_DEP_1)
	v_mad_u64_u32 v[2:3], null, s15, s2, v[0:1]
	s_clause 0x1
	s_load_b128 s[12:15], s[0:1], 0x18
	s_load_b32 s2, s[0:1], 0x2c
	v_mul_hi_u32 v0, v2, s6
	s_delay_alu instid0(VALU_DEP_1) | instskip(NEXT) | instid1(VALU_DEP_1)
	v_add_nc_u32_e32 v0, v2, v0
	v_lshrrev_b32_e32 v1, s7, v0
	s_delay_alu instid0(VALU_DEP_1) | instskip(NEXT) | instid1(VALU_DEP_1)
	v_mul_lo_u32 v0, v1, s8
	v_sub_nc_u32_e32 v0, v2, v0
	s_delay_alu instid0(VALU_DEP_1) | instskip(NEXT) | instid1(VALU_DEP_1)
	v_mul_hi_u32 v2, v0, s9
	v_add_nc_u32_e32 v2, v0, v2
	s_delay_alu instid0(VALU_DEP_1) | instskip(NEXT) | instid1(VALU_DEP_1)
	v_lshrrev_b32_e32 v2, s10, v2
	v_mul_lo_u32 v3, v2, s11
	v_cmp_gt_u32_e64 s3, s4, v2
	v_cmp_gt_u32_e64 s4, s5, v1
	s_delay_alu instid0(VALU_DEP_3) | instskip(SKIP_1) | instid1(VALU_DEP_1)
	v_sub_nc_u32_e32 v0, v0, v3
	s_waitcnt lgkmcnt(0)
	v_mul_hi_u32 v3, v0, s12
	s_delay_alu instid0(VALU_DEP_1) | instskip(NEXT) | instid1(VALU_DEP_1)
	v_add_nc_u32_e32 v3, v0, v3
	v_lshrrev_b32_e32 v3, s13, v3
	s_delay_alu instid0(VALU_DEP_1) | instskip(SKIP_1) | instid1(VALU_DEP_2)
	v_mul_lo_u32 v4, v3, s14
	v_cmp_gt_u32_e64 s2, s2, v3
	v_sub_nc_u32_e32 v0, v0, v4
	s_delay_alu instid0(VALU_DEP_1) | instskip(NEXT) | instid1(VALU_DEP_3)
	v_cmp_gt_u32_e32 vcc_lo, s14, v0
	s_and_b32 s2, vcc_lo, s2
	s_delay_alu instid0(SALU_CYCLE_1) | instskip(NEXT) | instid1(SALU_CYCLE_1)
	s_and_b32 s2, s2, s3
	s_and_b32 s2, s4, s2
	s_delay_alu instid0(SALU_CYCLE_1)
	s_and_saveexec_b32 s3, s2
	s_cbranch_execz .LBB58_5
; %bb.1:
	s_clause 0x4
	s_load_b64 s[2:3], s[0:1], 0x0
	s_load_b128 s[20:23], s[0:1], 0xa8
	s_load_b256 s[4:11], s[0:1], 0x88
	s_load_b128 s[24:27], s[0:1], 0x78
	s_load_b256 s[12:19], s[0:1], 0x58
	s_waitcnt lgkmcnt(0)
	s_cmp_eq_u64 s[2:3], 0
	s_cbranch_scc1 .LBB58_3
; %bb.2:
	v_mul_lo_u32 v4, v1, s10
	v_mul_lo_u32 v6, v2, s9
	;; [unrolled: 1-line block ×3, first 2 shown]
	v_mov_b32_e32 v5, 0
	s_delay_alu instid0(VALU_DEP_2) | instskip(NEXT) | instid1(VALU_DEP_1)
	v_add3_u32 v4, v6, v4, v7
	v_lshlrev_b64 v[6:7], 1, v[4:5]
	v_mul_lo_u32 v4, v0, s7
	s_delay_alu instid0(VALU_DEP_2) | instskip(NEXT) | instid1(VALU_DEP_3)
	v_add_co_u32 v6, vcc_lo, s2, v6
	v_add_co_ci_u32_e32 v7, vcc_lo, s3, v7, vcc_lo
	s_delay_alu instid0(VALU_DEP_3) | instskip(NEXT) | instid1(VALU_DEP_1)
	v_lshlrev_b64 v[4:5], 1, v[4:5]
	v_add_co_u32 v4, vcc_lo, v6, v4
	s_delay_alu instid0(VALU_DEP_2)
	v_add_co_ci_u32_e32 v5, vcc_lo, v7, v5, vcc_lo
	global_load_u16 v4, v[4:5], off
	s_waitcnt vmcnt(0)
	v_cvt_f32_f16_e32 v4, v4
	s_branch .LBB58_4
.LBB58_3:
	v_mov_b32_e32 v4, 0
.LBB58_4:
	v_mul_hi_u32 v5, s25, v1
	v_mul_hi_u32 v6, s18, v2
	;; [unrolled: 1-line block ×4, first 2 shown]
	s_delay_alu instid0(VALU_DEP_4) | instskip(NEXT) | instid1(VALU_DEP_4)
	v_add_nc_u32_e32 v5, v1, v5
	v_add_nc_u32_e32 v6, v2, v6
	s_delay_alu instid0(VALU_DEP_4) | instskip(NEXT) | instid1(VALU_DEP_4)
	v_add_nc_u32_e32 v7, v3, v7
	v_add_nc_u32_e32 v8, v0, v8
	s_delay_alu instid0(VALU_DEP_4) | instskip(NEXT) | instid1(VALU_DEP_4)
	v_lshrrev_b32_e32 v5, s26, v5
	v_lshrrev_b32_e32 v6, s19, v6
	s_delay_alu instid0(VALU_DEP_4) | instskip(NEXT) | instid1(VALU_DEP_4)
	v_lshrrev_b32_e32 v7, s16, v7
	v_lshrrev_b32_e32 v8, s13, v8
	s_delay_alu instid0(VALU_DEP_4) | instskip(NEXT) | instid1(VALU_DEP_4)
	v_mul_lo_u32 v5, v5, s27
	v_mul_lo_u32 v6, v6, s24
	s_delay_alu instid0(VALU_DEP_4) | instskip(NEXT) | instid1(VALU_DEP_4)
	v_mul_lo_u32 v7, v7, s17
	v_mul_lo_u32 v8, v8, s14
	s_delay_alu instid0(VALU_DEP_4) | instskip(NEXT) | instid1(VALU_DEP_4)
	v_sub_nc_u32_e32 v5, v1, v5
	v_sub_nc_u32_e32 v6, v2, v6
	s_delay_alu instid0(VALU_DEP_4) | instskip(NEXT) | instid1(VALU_DEP_4)
	v_sub_nc_u32_e32 v7, v3, v7
	v_sub_nc_u32_e32 v8, v0, v8
	v_mul_lo_u32 v1, v1, s6
	v_mul_lo_u32 v5, v5, s22
	v_mul_lo_u32 v6, v6, s21
	v_mul_lo_u32 v7, v7, s20
	v_mul_lo_u32 v8, v8, s11
	s_clause 0x1
	s_load_b256 s[8:15], s[0:1], 0xb8
	s_load_b64 s[0:1], s[0:1], 0x10
	v_mul_lo_u32 v2, v2, s5
	s_delay_alu instid0(VALU_DEP_3) | instskip(NEXT) | instid1(VALU_DEP_3)
	v_add3_u32 v5, v6, v5, v7
	v_ashrrev_i32_e32 v6, 31, v8
	s_delay_alu instid0(VALU_DEP_2) | instskip(SKIP_1) | instid1(VALU_DEP_2)
	v_ashrrev_i32_e32 v7, 31, v5
	v_add_co_u32 v5, vcc_lo, v8, v5
	v_add_co_ci_u32_e32 v6, vcc_lo, v6, v7, vcc_lo
	s_delay_alu instid0(VALU_DEP_1) | instskip(SKIP_1) | instid1(VALU_DEP_1)
	v_lshlrev_b64 v[5:6], 1, v[5:6]
	s_waitcnt lgkmcnt(0)
	v_add_co_u32 v7, vcc_lo, s8, v5
	s_delay_alu instid0(VALU_DEP_2)
	v_add_co_ci_u32_e32 v8, vcc_lo, s9, v6, vcc_lo
	v_add_co_u32 v9, vcc_lo, s10, v5
	v_add_co_ci_u32_e32 v10, vcc_lo, s11, v6, vcc_lo
	global_load_u16 v11, v[7:8], off
	v_add_co_u32 v7, vcc_lo, s12, v5
	v_add_co_ci_u32_e32 v8, vcc_lo, s13, v6, vcc_lo
	global_load_u16 v9, v[9:10], off
	;; [unrolled: 3-line block ×3, first 2 shown]
	global_load_u16 v5, v[5:6], off
	v_mul_lo_u32 v8, v3, s4
	v_mov_b32_e32 v3, 0
	s_delay_alu instid0(VALU_DEP_2) | instskip(NEXT) | instid1(VALU_DEP_2)
	v_add3_u32 v2, v2, v1, v8
	v_mov_b32_e32 v1, v3
	s_delay_alu instid0(VALU_DEP_2) | instskip(NEXT) | instid1(VALU_DEP_2)
	v_lshlrev_b64 v[2:3], 1, v[2:3]
	v_lshlrev_b64 v[0:1], 1, v[0:1]
	s_delay_alu instid0(VALU_DEP_2) | instskip(NEXT) | instid1(VALU_DEP_3)
	v_add_co_u32 v2, vcc_lo, s0, v2
	v_add_co_ci_u32_e32 v3, vcc_lo, s1, v3, vcc_lo
	s_delay_alu instid0(VALU_DEP_2) | instskip(NEXT) | instid1(VALU_DEP_2)
	v_add_co_u32 v0, vcc_lo, v2, v0
	v_add_co_ci_u32_e32 v1, vcc_lo, v3, v1, vcc_lo
	s_waitcnt vmcnt(3)
	v_cvt_f32_f16_e32 v6, v11
	s_waitcnt vmcnt(2)
	v_cvt_f32_f16_e32 v9, v9
	s_delay_alu instid0(VALU_DEP_2) | instskip(SKIP_2) | instid1(VALU_DEP_2)
	v_add_f32_e32 v4, v4, v6
	s_waitcnt vmcnt(1)
	v_cvt_f32_f16_e32 v6, v7
	v_add_f32_e32 v4, v4, v9
	s_waitcnt vmcnt(0)
	v_cvt_f32_f16_e32 v5, v5
	s_delay_alu instid0(VALU_DEP_2) | instskip(NEXT) | instid1(VALU_DEP_1)
	v_add_f32_e32 v4, v4, v6
	v_add_f32_e32 v4, v4, v5
	s_delay_alu instid0(VALU_DEP_1)
	v_cvt_f16_f32_e32 v4, v4
	global_store_b16 v[0:1], v4, off
.LBB58_5:
	s_nop 0
	s_sendmsg sendmsg(MSG_DEALLOC_VGPRS)
	s_endpgm
	.section	.rodata,"a",@progbits
	.p2align	6, 0x0
	.amdhsa_kernel _ZL19k_bin_bcast_unravelIXadL_ZL6op_addffEE6__halfS0_S0_JPKS0_S2_S2_S2_EEvPKT0_PKT1_PT2_15HIP_vector_typeIjLj3EESC_SC_jSC_SC_SC_SC_SC_SC_iiiiiiiiiiiDpT3_
		.amdhsa_group_segment_fixed_size 0
		.amdhsa_private_segment_fixed_size 0
		.amdhsa_kernarg_size 472
		.amdhsa_user_sgpr_count 15
		.amdhsa_user_sgpr_dispatch_ptr 0
		.amdhsa_user_sgpr_queue_ptr 0
		.amdhsa_user_sgpr_kernarg_segment_ptr 1
		.amdhsa_user_sgpr_dispatch_id 0
		.amdhsa_user_sgpr_private_segment_size 0
		.amdhsa_wavefront_size32 1
		.amdhsa_uses_dynamic_stack 0
		.amdhsa_enable_private_segment 0
		.amdhsa_system_sgpr_workgroup_id_x 1
		.amdhsa_system_sgpr_workgroup_id_y 0
		.amdhsa_system_sgpr_workgroup_id_z 0
		.amdhsa_system_sgpr_workgroup_info 0
		.amdhsa_system_vgpr_workitem_id 0
		.amdhsa_next_free_vgpr 12
		.amdhsa_next_free_sgpr 28
		.amdhsa_reserve_vcc 1
		.amdhsa_float_round_mode_32 0
		.amdhsa_float_round_mode_16_64 0
		.amdhsa_float_denorm_mode_32 3
		.amdhsa_float_denorm_mode_16_64 3
		.amdhsa_dx10_clamp 1
		.amdhsa_ieee_mode 1
		.amdhsa_fp16_overflow 0
		.amdhsa_workgroup_processor_mode 1
		.amdhsa_memory_ordered 1
		.amdhsa_forward_progress 0
		.amdhsa_shared_vgpr_count 0
		.amdhsa_exception_fp_ieee_invalid_op 0
		.amdhsa_exception_fp_denorm_src 0
		.amdhsa_exception_fp_ieee_div_zero 0
		.amdhsa_exception_fp_ieee_overflow 0
		.amdhsa_exception_fp_ieee_underflow 0
		.amdhsa_exception_fp_ieee_inexact 0
		.amdhsa_exception_int_div_zero 0
	.end_amdhsa_kernel
	.section	.text._ZL19k_bin_bcast_unravelIXadL_ZL6op_addffEE6__halfS0_S0_JPKS0_S2_S2_S2_EEvPKT0_PKT1_PT2_15HIP_vector_typeIjLj3EESC_SC_jSC_SC_SC_SC_SC_SC_iiiiiiiiiiiDpT3_,"axG",@progbits,_ZL19k_bin_bcast_unravelIXadL_ZL6op_addffEE6__halfS0_S0_JPKS0_S2_S2_S2_EEvPKT0_PKT1_PT2_15HIP_vector_typeIjLj3EESC_SC_jSC_SC_SC_SC_SC_SC_iiiiiiiiiiiDpT3_,comdat
.Lfunc_end58:
	.size	_ZL19k_bin_bcast_unravelIXadL_ZL6op_addffEE6__halfS0_S0_JPKS0_S2_S2_S2_EEvPKT0_PKT1_PT2_15HIP_vector_typeIjLj3EESC_SC_jSC_SC_SC_SC_SC_SC_iiiiiiiiiiiDpT3_, .Lfunc_end58-_ZL19k_bin_bcast_unravelIXadL_ZL6op_addffEE6__halfS0_S0_JPKS0_S2_S2_S2_EEvPKT0_PKT1_PT2_15HIP_vector_typeIjLj3EESC_SC_jSC_SC_SC_SC_SC_SC_iiiiiiiiiiiDpT3_
                                        ; -- End function
	.section	.AMDGPU.csdata,"",@progbits
; Kernel info:
; codeLenInByte = 932
; NumSgprs: 30
; NumVgprs: 12
; ScratchSize: 0
; MemoryBound: 0
; FloatMode: 240
; IeeeMode: 1
; LDSByteSize: 0 bytes/workgroup (compile time only)
; SGPRBlocks: 3
; VGPRBlocks: 1
; NumSGPRsForWavesPerEU: 30
; NumVGPRsForWavesPerEU: 12
; Occupancy: 16
; WaveLimiterHint : 1
; COMPUTE_PGM_RSRC2:SCRATCH_EN: 0
; COMPUTE_PGM_RSRC2:USER_SGPR: 15
; COMPUTE_PGM_RSRC2:TRAP_HANDLER: 0
; COMPUTE_PGM_RSRC2:TGID_X_EN: 1
; COMPUTE_PGM_RSRC2:TGID_Y_EN: 0
; COMPUTE_PGM_RSRC2:TGID_Z_EN: 0
; COMPUTE_PGM_RSRC2:TIDIG_COMP_CNT: 0
	.section	.text._ZL11k_bin_bcastIXadL_ZL6op_addffEE6__halfS0_S0_JPKS0_S2_S2_S2_EEvPKT0_PKT1_PT2_iii15HIP_vector_typeIjLj3EESC_SC_SC_SC_iiiiiiiiiiiDpT3_,"axG",@progbits,_ZL11k_bin_bcastIXadL_ZL6op_addffEE6__halfS0_S0_JPKS0_S2_S2_S2_EEvPKT0_PKT1_PT2_iii15HIP_vector_typeIjLj3EESC_SC_SC_SC_iiiiiiiiiiiDpT3_,comdat
	.globl	_ZL11k_bin_bcastIXadL_ZL6op_addffEE6__halfS0_S0_JPKS0_S2_S2_S2_EEvPKT0_PKT1_PT2_iii15HIP_vector_typeIjLj3EESC_SC_SC_SC_iiiiiiiiiiiDpT3_ ; -- Begin function _ZL11k_bin_bcastIXadL_ZL6op_addffEE6__halfS0_S0_JPKS0_S2_S2_S2_EEvPKT0_PKT1_PT2_iii15HIP_vector_typeIjLj3EESC_SC_SC_SC_iiiiiiiiiiiDpT3_
	.p2align	8
	.type	_ZL11k_bin_bcastIXadL_ZL6op_addffEE6__halfS0_S0_JPKS0_S2_S2_S2_EEvPKT0_PKT1_PT2_iii15HIP_vector_typeIjLj3EESC_SC_SC_SC_iiiiiiiiiiiDpT3_,@function
_ZL11k_bin_bcastIXadL_ZL6op_addffEE6__halfS0_S0_JPKS0_S2_S2_S2_EEvPKT0_PKT1_PT2_iii15HIP_vector_typeIjLj3EESC_SC_SC_SC_iiiiiiiiiiiDpT3_: ; @_ZL11k_bin_bcastIXadL_ZL6op_addffEE6__halfS0_S0_JPKS0_S2_S2_S2_EEvPKT0_PKT1_PT2_iii15HIP_vector_typeIjLj3EESC_SC_SC_SC_iiiiiiiiiiiDpT3_
; %bb.0:
	s_clause 0x1
	s_load_b64 s[2:3], s[0:1], 0xbc
	s_load_b256 s[16:23], s[0:1], 0x18
	v_bfe_u32 v1, v0, 20, 10
	s_add_u32 s34, s0, 0xb0
	s_addc_u32 s35, s1, 0
	s_waitcnt lgkmcnt(0)
	s_and_b32 s3, s3, 0xffff
	s_delay_alu instid0(SALU_CYCLE_1) | instskip(SKIP_3) | instid1(VALU_DEP_3)
	v_mad_u64_u32 v[4:5], null, s15, s3, v[1:2]
	v_and_b32_e32 v2, 0x3ff, v0
	v_bfe_u32 v5, v0, 10, 10
	s_lshr_b32 s3, s2, 16
	v_mul_hi_u32 v1, v4, s19
	s_and_b32 s19, s2, 0xffff
	s_delay_alu instid0(VALU_DEP_1) | instskip(NEXT) | instid1(VALU_DEP_1)
	v_add_nc_u32_e32 v1, v4, v1
	v_lshrrev_b32_e32 v3, s20, v1
	s_delay_alu instid0(VALU_DEP_1) | instskip(SKIP_1) | instid1(VALU_DEP_2)
	v_mul_lo_u32 v6, v3, s21
	v_mad_u64_u32 v[0:1], null, s13, s19, v[2:3]
	v_mad_u64_u32 v[1:2], null, s14, s3, v[5:6]
	v_sub_nc_u32_e32 v4, v4, v6
	s_delay_alu instid0(VALU_DEP_3) | instskip(SKIP_1) | instid1(VALU_DEP_3)
	v_cmp_gt_u32_e32 vcc_lo, s16, v0
	v_cmp_gt_u32_e64 s3, s18, v3
	v_cmp_gt_u32_e64 s4, s21, v4
	;; [unrolled: 1-line block ×3, first 2 shown]
	s_delay_alu instid0(VALU_DEP_1)
	s_and_b32 s2, vcc_lo, s2
	s_delay_alu instid0(VALU_DEP_3) | instid1(SALU_CYCLE_1)
	s_and_b32 s2, s2, s3
	s_delay_alu instid0(VALU_DEP_2) | instid1(SALU_CYCLE_1)
	s_and_b32 s2, s2, s4
	s_delay_alu instid0(SALU_CYCLE_1)
	s_and_saveexec_b32 s3, s2
	s_cbranch_execz .LBB59_6
; %bb.1:
	v_cmp_gt_i32_e32 vcc_lo, s16, v0
	s_and_b32 exec_lo, exec_lo, vcc_lo
	s_cbranch_execz .LBB59_6
; %bb.2:
	s_clause 0x2
	s_load_b256 s[24:31], s[0:1], 0x3c
	s_load_b256 s[4:11], s[0:1], 0x60
	s_load_b128 s[12:15], s[0:1], 0x80
	s_waitcnt lgkmcnt(0)
	s_load_b32 s15, s[34:35], 0x0
	s_clause 0x1
	s_load_b32 s17, s[0:1], 0x5c
	s_load_b64 s[2:3], s[0:1], 0x0
	v_mul_hi_u32 v2, s24, v1
	v_mul_hi_u32 v5, s27, v3
	;; [unrolled: 1-line block ×3, first 2 shown]
	v_mul_lo_u32 v9, v4, s10
	v_mul_lo_u32 v10, v3, s9
	v_mul_lo_u32 v11, v1, s8
	v_mov_b32_e32 v6, 0
	v_mul_lo_u32 v12, v4, s6
	v_add_nc_u32_e32 v2, v1, v2
	v_add_nc_u32_e32 v5, v3, v5
	s_delay_alu instid0(VALU_DEP_4) | instskip(SKIP_1) | instid1(VALU_DEP_4)
	v_dual_mov_b32 v8, v6 :: v_dual_add_nc_u32 v7, v4, v7
	v_mul_lo_u32 v13, v3, s5
	v_lshrrev_b32_e32 v2, s25, v2
	s_delay_alu instid0(VALU_DEP_4) | instskip(NEXT) | instid1(VALU_DEP_4)
	v_lshrrev_b32_e32 v15, s28, v5
	v_lshrrev_b32_e32 v16, s31, v7
	v_mul_lo_u32 v14, v1, s4
	s_clause 0x1
	s_load_b32 s6, s[0:1], 0x38
	s_load_b64 s[4:5], s[0:1], 0x10
	v_add3_u32 v5, v10, v11, v9
	v_mul_lo_u32 v9, v2, s26
	v_mul_lo_u32 v10, v15, s29
	s_waitcnt lgkmcnt(0)
	v_mul_lo_u32 v11, v16, s17
	s_load_b256 s[24:31], s[0:1], 0x90
	v_lshlrev_b64 v[5:6], 1, v[5:6]
	v_add3_u32 v7, v13, v14, v12
	s_cmp_lg_u64 s[2:3], 0
	v_mul_lo_u32 v2, s7, v0
	v_sub_nc_u32_e32 v1, v1, v9
	v_sub_nc_u32_e32 v3, v3, v10
	;; [unrolled: 1-line block ×3, first 2 shown]
	v_add_co_u32 v9, vcc_lo, s2, v5
	v_add_co_ci_u32_e32 v5, vcc_lo, s3, v6, vcc_lo
	v_lshlrev_b64 v[7:8], 1, v[7:8]
	s_delay_alu instid0(VALU_DEP_4)
	v_mul_lo_u32 v10, v4, s14
	v_mul_lo_u32 v3, v3, s13
	v_mul_lo_u32 v1, v1, s12
	s_cselect_b32 vcc_lo, -1, 0
	s_mul_i32 s2, s15, s19
	v_cndmask_b32_e32 v5, 0, v5, vcc_lo
	v_cndmask_b32_e32 v4, 0, v9, vcc_lo
	v_add_co_u32 v6, vcc_lo, s4, v7
	v_add_co_ci_u32_e32 v7, vcc_lo, s5, v8, vcc_lo
	s_delay_alu instid0(VALU_DEP_3)
	v_cmp_ne_u64_e32 vcc_lo, 0, v[4:5]
	v_add3_u32 v8, v3, v10, v1
	s_mov_b32 s3, 0
	s_mul_i32 s4, s2, s7
	s_sub_i32 s5, 0, s6
	s_branch .LBB59_4
.LBB59_3:                               ;   in Loop: Header=BB59_4 Depth=1
	s_or_b32 exec_lo, exec_lo, s1
	v_mul_hi_u32 v3, s22, v0
	v_add_nc_u32_e32 v2, s4, v2
	s_delay_alu instid0(VALU_DEP_2) | instskip(NEXT) | instid1(VALU_DEP_1)
	v_add_nc_u32_e32 v3, v0, v3
	v_lshrrev_b32_e32 v3, s23, v3
	s_delay_alu instid0(VALU_DEP_1) | instskip(NEXT) | instid1(VALU_DEP_1)
	v_mad_u64_u32 v[9:10], null, s5, v3, v[0:1]
	v_mul_lo_u32 v3, v9, s11
	s_delay_alu instid0(VALU_DEP_1) | instskip(NEXT) | instid1(VALU_DEP_1)
	v_add_co_u32 v9, s0, v3, v8
	v_add_co_ci_u32_e64 v10, null, 0, 0, s0
	s_delay_alu instid0(VALU_DEP_1) | instskip(SKIP_1) | instid1(VALU_DEP_1)
	v_lshlrev_b64 v[9:10], 1, v[9:10]
	s_waitcnt lgkmcnt(0)
	v_add_co_u32 v11, s0, s24, v9
	s_delay_alu instid0(VALU_DEP_1) | instskip(SKIP_1) | instid1(VALU_DEP_1)
	v_add_co_ci_u32_e64 v12, s0, s25, v10, s0
	v_add_co_u32 v13, s0, s26, v9
	v_add_co_ci_u32_e64 v14, s0, s27, v10, s0
	global_load_u16 v3, v[11:12], off
	v_add_co_u32 v11, s0, s28, v9
	s_delay_alu instid0(VALU_DEP_1) | instskip(SKIP_2) | instid1(VALU_DEP_1)
	v_add_co_ci_u32_e64 v12, s0, s29, v10, s0
	global_load_u16 v13, v[13:14], off
	v_add_co_u32 v9, s0, s30, v9
	v_add_co_ci_u32_e64 v10, s0, s31, v10, s0
	global_load_u16 v11, v[11:12], off
	global_load_u16 v9, v[9:10], off
	s_waitcnt vmcnt(3)
	v_cvt_f32_f16_e32 v3, v3
	s_waitcnt vmcnt(2)
	v_cvt_f32_f16_e32 v10, v13
	s_delay_alu instid0(VALU_DEP_2) | instskip(SKIP_2) | instid1(VALU_DEP_2)
	v_add_f32_e32 v1, v1, v3
	s_waitcnt vmcnt(1)
	v_cvt_f32_f16_e32 v3, v11
	v_add_f32_e32 v10, v1, v10
	v_ashrrev_i32_e32 v1, 31, v0
	s_waitcnt vmcnt(0)
	v_cvt_f32_f16_e32 v11, v9
	s_delay_alu instid0(VALU_DEP_3) | instskip(NEXT) | instid1(VALU_DEP_3)
	v_add_f32_e32 v3, v10, v3
	v_lshlrev_b64 v[9:10], 1, v[0:1]
	s_delay_alu instid0(VALU_DEP_2) | instskip(NEXT) | instid1(VALU_DEP_1)
	v_dual_add_f32 v1, v3, v11 :: v_dual_add_nc_u32 v0, s2, v0
	v_cmp_le_i32_e64 s0, s16, v0
	s_delay_alu instid0(VALU_DEP_3) | instskip(NEXT) | instid1(VALU_DEP_3)
	v_add_co_u32 v9, s1, v6, v9
	v_cvt_f16_f32_e32 v1, v1
	v_add_co_ci_u32_e64 v10, s1, v7, v10, s1
	s_delay_alu instid0(VALU_DEP_4)
	s_or_b32 s3, s0, s3
	global_store_b16 v[9:10], v1, off
	s_and_not1_b32 exec_lo, exec_lo, s3
	s_cbranch_execz .LBB59_6
.LBB59_4:                               ; =>This Inner Loop Header: Depth=1
	v_mov_b32_e32 v1, 0
	s_and_saveexec_b32 s1, vcc_lo
	s_cbranch_execz .LBB59_3
; %bb.5:                                ;   in Loop: Header=BB59_4 Depth=1
	v_ashrrev_i32_e32 v3, 31, v2
	s_delay_alu instid0(VALU_DEP_1) | instskip(NEXT) | instid1(VALU_DEP_1)
	v_lshlrev_b64 v[9:10], 1, v[2:3]
	v_add_co_u32 v9, s0, v4, v9
	s_delay_alu instid0(VALU_DEP_1)
	v_add_co_ci_u32_e64 v10, s0, v5, v10, s0
	global_load_u16 v1, v[9:10], off
	s_waitcnt vmcnt(0)
	v_cvt_f32_f16_e32 v1, v1
	s_branch .LBB59_3
.LBB59_6:
	s_nop 0
	s_sendmsg sendmsg(MSG_DEALLOC_VGPRS)
	s_endpgm
	.section	.rodata,"a",@progbits
	.p2align	6, 0x0
	.amdhsa_kernel _ZL11k_bin_bcastIXadL_ZL6op_addffEE6__halfS0_S0_JPKS0_S2_S2_S2_EEvPKT0_PKT1_PT2_iii15HIP_vector_typeIjLj3EESC_SC_SC_SC_iiiiiiiiiiiDpT3_
		.amdhsa_group_segment_fixed_size 0
		.amdhsa_private_segment_fixed_size 0
		.amdhsa_kernarg_size 432
		.amdhsa_user_sgpr_count 13
		.amdhsa_user_sgpr_dispatch_ptr 0
		.amdhsa_user_sgpr_queue_ptr 0
		.amdhsa_user_sgpr_kernarg_segment_ptr 1
		.amdhsa_user_sgpr_dispatch_id 0
		.amdhsa_user_sgpr_private_segment_size 0
		.amdhsa_wavefront_size32 1
		.amdhsa_uses_dynamic_stack 0
		.amdhsa_enable_private_segment 0
		.amdhsa_system_sgpr_workgroup_id_x 1
		.amdhsa_system_sgpr_workgroup_id_y 1
		.amdhsa_system_sgpr_workgroup_id_z 1
		.amdhsa_system_sgpr_workgroup_info 0
		.amdhsa_system_vgpr_workitem_id 2
		.amdhsa_next_free_vgpr 17
		.amdhsa_next_free_sgpr 36
		.amdhsa_reserve_vcc 1
		.amdhsa_float_round_mode_32 0
		.amdhsa_float_round_mode_16_64 0
		.amdhsa_float_denorm_mode_32 3
		.amdhsa_float_denorm_mode_16_64 3
		.amdhsa_dx10_clamp 1
		.amdhsa_ieee_mode 1
		.amdhsa_fp16_overflow 0
		.amdhsa_workgroup_processor_mode 1
		.amdhsa_memory_ordered 1
		.amdhsa_forward_progress 0
		.amdhsa_shared_vgpr_count 0
		.amdhsa_exception_fp_ieee_invalid_op 0
		.amdhsa_exception_fp_denorm_src 0
		.amdhsa_exception_fp_ieee_div_zero 0
		.amdhsa_exception_fp_ieee_overflow 0
		.amdhsa_exception_fp_ieee_underflow 0
		.amdhsa_exception_fp_ieee_inexact 0
		.amdhsa_exception_int_div_zero 0
	.end_amdhsa_kernel
	.section	.text._ZL11k_bin_bcastIXadL_ZL6op_addffEE6__halfS0_S0_JPKS0_S2_S2_S2_EEvPKT0_PKT1_PT2_iii15HIP_vector_typeIjLj3EESC_SC_SC_SC_iiiiiiiiiiiDpT3_,"axG",@progbits,_ZL11k_bin_bcastIXadL_ZL6op_addffEE6__halfS0_S0_JPKS0_S2_S2_S2_EEvPKT0_PKT1_PT2_iii15HIP_vector_typeIjLj3EESC_SC_SC_SC_iiiiiiiiiiiDpT3_,comdat
.Lfunc_end59:
	.size	_ZL11k_bin_bcastIXadL_ZL6op_addffEE6__halfS0_S0_JPKS0_S2_S2_S2_EEvPKT0_PKT1_PT2_iii15HIP_vector_typeIjLj3EESC_SC_SC_SC_iiiiiiiiiiiDpT3_, .Lfunc_end59-_ZL11k_bin_bcastIXadL_ZL6op_addffEE6__halfS0_S0_JPKS0_S2_S2_S2_EEvPKT0_PKT1_PT2_iii15HIP_vector_typeIjLj3EESC_SC_SC_SC_iiiiiiiiiiiDpT3_
                                        ; -- End function
	.section	.AMDGPU.csdata,"",@progbits
; Kernel info:
; codeLenInByte = 1008
; NumSgprs: 38
; NumVgprs: 17
; ScratchSize: 0
; MemoryBound: 0
; FloatMode: 240
; IeeeMode: 1
; LDSByteSize: 0 bytes/workgroup (compile time only)
; SGPRBlocks: 4
; VGPRBlocks: 2
; NumSGPRsForWavesPerEU: 38
; NumVGPRsForWavesPerEU: 17
; Occupancy: 16
; WaveLimiterHint : 1
; COMPUTE_PGM_RSRC2:SCRATCH_EN: 0
; COMPUTE_PGM_RSRC2:USER_SGPR: 13
; COMPUTE_PGM_RSRC2:TRAP_HANDLER: 0
; COMPUTE_PGM_RSRC2:TGID_X_EN: 1
; COMPUTE_PGM_RSRC2:TGID_Y_EN: 1
; COMPUTE_PGM_RSRC2:TGID_Z_EN: 1
; COMPUTE_PGM_RSRC2:TIDIG_COMP_CNT: 2
	.section	.text._ZL19k_bin_bcast_unravelIXadL_ZL6op_addffEE6__halffS0_JPKfS2_S2_S2_EEvPKT0_PKT1_PT2_15HIP_vector_typeIjLj3EESC_SC_jSC_SC_SC_SC_SC_SC_iiiiiiiiiiiDpT3_,"axG",@progbits,_ZL19k_bin_bcast_unravelIXadL_ZL6op_addffEE6__halffS0_JPKfS2_S2_S2_EEvPKT0_PKT1_PT2_15HIP_vector_typeIjLj3EESC_SC_jSC_SC_SC_SC_SC_SC_iiiiiiiiiiiDpT3_,comdat
	.globl	_ZL19k_bin_bcast_unravelIXadL_ZL6op_addffEE6__halffS0_JPKfS2_S2_S2_EEvPKT0_PKT1_PT2_15HIP_vector_typeIjLj3EESC_SC_jSC_SC_SC_SC_SC_SC_iiiiiiiiiiiDpT3_ ; -- Begin function _ZL19k_bin_bcast_unravelIXadL_ZL6op_addffEE6__halffS0_JPKfS2_S2_S2_EEvPKT0_PKT1_PT2_15HIP_vector_typeIjLj3EESC_SC_jSC_SC_SC_SC_SC_SC_iiiiiiiiiiiDpT3_
	.p2align	8
	.type	_ZL19k_bin_bcast_unravelIXadL_ZL6op_addffEE6__halffS0_JPKfS2_S2_S2_EEvPKT0_PKT1_PT2_15HIP_vector_typeIjLj3EESC_SC_jSC_SC_SC_SC_SC_SC_iiiiiiiiiiiDpT3_,@function
_ZL19k_bin_bcast_unravelIXadL_ZL6op_addffEE6__halffS0_JPKfS2_S2_S2_EEvPKT0_PKT1_PT2_15HIP_vector_typeIjLj3EESC_SC_jSC_SC_SC_SC_SC_SC_iiiiiiiiiiiDpT3_: ; @_ZL19k_bin_bcast_unravelIXadL_ZL6op_addffEE6__halffS0_JPKfS2_S2_S2_EEvPKT0_PKT1_PT2_15HIP_vector_typeIjLj3EESC_SC_jSC_SC_SC_SC_SC_SC_iiiiiiiiiiiDpT3_
; %bb.0:
	s_clause 0x1
	s_load_b32 s2, s[0:1], 0xe4
	s_load_b256 s[4:11], s[0:1], 0x38
	s_waitcnt lgkmcnt(0)
	s_and_b32 s2, s2, 0xffff
	s_delay_alu instid0(SALU_CYCLE_1) | instskip(SKIP_3) | instid1(VALU_DEP_1)
	v_mad_u64_u32 v[2:3], null, s15, s2, v[0:1]
	s_clause 0x1
	s_load_b128 s[12:15], s[0:1], 0x18
	s_load_b32 s2, s[0:1], 0x2c
	v_mul_hi_u32 v0, v2, s6
	s_delay_alu instid0(VALU_DEP_1) | instskip(NEXT) | instid1(VALU_DEP_1)
	v_add_nc_u32_e32 v0, v2, v0
	v_lshrrev_b32_e32 v1, s7, v0
	s_delay_alu instid0(VALU_DEP_1) | instskip(NEXT) | instid1(VALU_DEP_1)
	v_mul_lo_u32 v0, v1, s8
	v_sub_nc_u32_e32 v0, v2, v0
	s_delay_alu instid0(VALU_DEP_1) | instskip(NEXT) | instid1(VALU_DEP_1)
	v_mul_hi_u32 v2, v0, s9
	v_add_nc_u32_e32 v2, v0, v2
	s_delay_alu instid0(VALU_DEP_1) | instskip(NEXT) | instid1(VALU_DEP_1)
	v_lshrrev_b32_e32 v2, s10, v2
	v_mul_lo_u32 v3, v2, s11
	v_cmp_gt_u32_e64 s3, s4, v2
	v_cmp_gt_u32_e64 s4, s5, v1
	s_delay_alu instid0(VALU_DEP_3) | instskip(SKIP_1) | instid1(VALU_DEP_1)
	v_sub_nc_u32_e32 v0, v0, v3
	s_waitcnt lgkmcnt(0)
	v_mul_hi_u32 v3, v0, s12
	s_delay_alu instid0(VALU_DEP_1) | instskip(NEXT) | instid1(VALU_DEP_1)
	v_add_nc_u32_e32 v3, v0, v3
	v_lshrrev_b32_e32 v3, s13, v3
	s_delay_alu instid0(VALU_DEP_1) | instskip(SKIP_1) | instid1(VALU_DEP_2)
	v_mul_lo_u32 v4, v3, s14
	v_cmp_gt_u32_e64 s2, s2, v3
	v_sub_nc_u32_e32 v0, v0, v4
	s_delay_alu instid0(VALU_DEP_1) | instskip(NEXT) | instid1(VALU_DEP_3)
	v_cmp_gt_u32_e32 vcc_lo, s14, v0
	s_and_b32 s2, vcc_lo, s2
	s_delay_alu instid0(SALU_CYCLE_1) | instskip(NEXT) | instid1(SALU_CYCLE_1)
	s_and_b32 s2, s2, s3
	s_and_b32 s2, s4, s2
	s_delay_alu instid0(SALU_CYCLE_1)
	s_and_saveexec_b32 s3, s2
	s_cbranch_execz .LBB60_5
; %bb.1:
	s_clause 0x4
	s_load_b64 s[2:3], s[0:1], 0x0
	s_load_b128 s[20:23], s[0:1], 0xa8
	s_load_b256 s[4:11], s[0:1], 0x88
	s_load_b128 s[24:27], s[0:1], 0x78
	s_load_b256 s[12:19], s[0:1], 0x58
	s_waitcnt lgkmcnt(0)
	s_cmp_eq_u64 s[2:3], 0
	s_cbranch_scc1 .LBB60_3
; %bb.2:
	v_mul_lo_u32 v4, v1, s10
	v_mul_lo_u32 v6, v2, s9
	;; [unrolled: 1-line block ×3, first 2 shown]
	v_mov_b32_e32 v5, 0
	s_delay_alu instid0(VALU_DEP_2) | instskip(NEXT) | instid1(VALU_DEP_1)
	v_add3_u32 v4, v6, v4, v7
	v_lshlrev_b64 v[6:7], 1, v[4:5]
	v_mul_lo_u32 v4, v0, s7
	s_delay_alu instid0(VALU_DEP_2) | instskip(NEXT) | instid1(VALU_DEP_3)
	v_add_co_u32 v6, vcc_lo, s2, v6
	v_add_co_ci_u32_e32 v7, vcc_lo, s3, v7, vcc_lo
	s_delay_alu instid0(VALU_DEP_3) | instskip(NEXT) | instid1(VALU_DEP_1)
	v_lshlrev_b64 v[4:5], 1, v[4:5]
	v_add_co_u32 v4, vcc_lo, v6, v4
	s_delay_alu instid0(VALU_DEP_2)
	v_add_co_ci_u32_e32 v5, vcc_lo, v7, v5, vcc_lo
	global_load_u16 v4, v[4:5], off
	s_waitcnt vmcnt(0)
	v_cvt_f32_f16_e32 v4, v4
	s_branch .LBB60_4
.LBB60_3:
	v_mov_b32_e32 v4, 0
.LBB60_4:
	v_mul_hi_u32 v5, s25, v1
	v_mul_hi_u32 v6, s18, v2
	;; [unrolled: 1-line block ×4, first 2 shown]
	s_delay_alu instid0(VALU_DEP_4) | instskip(NEXT) | instid1(VALU_DEP_4)
	v_add_nc_u32_e32 v5, v1, v5
	v_add_nc_u32_e32 v6, v2, v6
	s_delay_alu instid0(VALU_DEP_4) | instskip(NEXT) | instid1(VALU_DEP_4)
	v_add_nc_u32_e32 v7, v3, v7
	v_add_nc_u32_e32 v8, v0, v8
	s_delay_alu instid0(VALU_DEP_4) | instskip(NEXT) | instid1(VALU_DEP_4)
	v_lshrrev_b32_e32 v5, s26, v5
	v_lshrrev_b32_e32 v6, s19, v6
	s_delay_alu instid0(VALU_DEP_4) | instskip(NEXT) | instid1(VALU_DEP_4)
	v_lshrrev_b32_e32 v7, s16, v7
	v_lshrrev_b32_e32 v8, s13, v8
	s_delay_alu instid0(VALU_DEP_4) | instskip(NEXT) | instid1(VALU_DEP_4)
	v_mul_lo_u32 v5, v5, s27
	v_mul_lo_u32 v6, v6, s24
	s_delay_alu instid0(VALU_DEP_4) | instskip(NEXT) | instid1(VALU_DEP_4)
	v_mul_lo_u32 v7, v7, s17
	v_mul_lo_u32 v8, v8, s14
	s_delay_alu instid0(VALU_DEP_4) | instskip(NEXT) | instid1(VALU_DEP_4)
	v_sub_nc_u32_e32 v5, v1, v5
	v_sub_nc_u32_e32 v6, v2, v6
	s_delay_alu instid0(VALU_DEP_4) | instskip(NEXT) | instid1(VALU_DEP_4)
	v_sub_nc_u32_e32 v7, v3, v7
	v_sub_nc_u32_e32 v8, v0, v8
	v_mul_lo_u32 v1, v1, s6
	v_mul_lo_u32 v5, v5, s22
	;; [unrolled: 1-line block ×5, first 2 shown]
	s_clause 0x1
	s_load_b256 s[8:15], s[0:1], 0xb8
	s_load_b64 s[0:1], s[0:1], 0x10
	v_mul_lo_u32 v2, v2, s5
	s_delay_alu instid0(VALU_DEP_3) | instskip(NEXT) | instid1(VALU_DEP_3)
	v_add3_u32 v5, v6, v5, v7
	v_ashrrev_i32_e32 v6, 31, v8
	s_delay_alu instid0(VALU_DEP_2) | instskip(SKIP_1) | instid1(VALU_DEP_2)
	v_ashrrev_i32_e32 v7, 31, v5
	v_add_co_u32 v5, vcc_lo, v8, v5
	v_add_co_ci_u32_e32 v6, vcc_lo, v6, v7, vcc_lo
	s_delay_alu instid0(VALU_DEP_1) | instskip(SKIP_1) | instid1(VALU_DEP_1)
	v_lshlrev_b64 v[5:6], 2, v[5:6]
	s_waitcnt lgkmcnt(0)
	v_add_co_u32 v7, vcc_lo, s8, v5
	s_delay_alu instid0(VALU_DEP_2)
	v_add_co_ci_u32_e32 v8, vcc_lo, s9, v6, vcc_lo
	v_add_co_u32 v9, vcc_lo, s10, v5
	v_add_co_ci_u32_e32 v10, vcc_lo, s11, v6, vcc_lo
	global_load_b32 v11, v[7:8], off
	v_add_co_u32 v7, vcc_lo, s12, v5
	v_add_co_ci_u32_e32 v8, vcc_lo, s13, v6, vcc_lo
	global_load_b32 v9, v[9:10], off
	;; [unrolled: 3-line block ×3, first 2 shown]
	global_load_b32 v5, v[5:6], off
	v_mul_lo_u32 v6, v3, s4
	v_mov_b32_e32 v3, 0
	s_delay_alu instid0(VALU_DEP_2) | instskip(NEXT) | instid1(VALU_DEP_2)
	v_add3_u32 v2, v2, v1, v6
	v_mov_b32_e32 v1, v3
	s_delay_alu instid0(VALU_DEP_2) | instskip(NEXT) | instid1(VALU_DEP_2)
	v_lshlrev_b64 v[2:3], 1, v[2:3]
	v_lshlrev_b64 v[0:1], 1, v[0:1]
	s_delay_alu instid0(VALU_DEP_2) | instskip(NEXT) | instid1(VALU_DEP_3)
	v_add_co_u32 v2, vcc_lo, s0, v2
	v_add_co_ci_u32_e32 v3, vcc_lo, s1, v3, vcc_lo
	s_delay_alu instid0(VALU_DEP_2) | instskip(NEXT) | instid1(VALU_DEP_2)
	v_add_co_u32 v0, vcc_lo, v2, v0
	v_add_co_ci_u32_e32 v1, vcc_lo, v3, v1, vcc_lo
	s_waitcnt vmcnt(3)
	v_add_f32_e32 v4, v4, v11
	s_waitcnt vmcnt(2)
	s_delay_alu instid0(VALU_DEP_1) | instskip(SKIP_1) | instid1(VALU_DEP_1)
	v_add_f32_e32 v4, v4, v9
	s_waitcnt vmcnt(1)
	v_add_f32_e32 v4, v4, v7
	s_waitcnt vmcnt(0)
	s_delay_alu instid0(VALU_DEP_1) | instskip(NEXT) | instid1(VALU_DEP_1)
	v_add_f32_e32 v4, v4, v5
	v_cvt_f16_f32_e32 v4, v4
	global_store_b16 v[0:1], v4, off
.LBB60_5:
	s_nop 0
	s_sendmsg sendmsg(MSG_DEALLOC_VGPRS)
	s_endpgm
	.section	.rodata,"a",@progbits
	.p2align	6, 0x0
	.amdhsa_kernel _ZL19k_bin_bcast_unravelIXadL_ZL6op_addffEE6__halffS0_JPKfS2_S2_S2_EEvPKT0_PKT1_PT2_15HIP_vector_typeIjLj3EESC_SC_jSC_SC_SC_SC_SC_SC_iiiiiiiiiiiDpT3_
		.amdhsa_group_segment_fixed_size 0
		.amdhsa_private_segment_fixed_size 0
		.amdhsa_kernarg_size 472
		.amdhsa_user_sgpr_count 15
		.amdhsa_user_sgpr_dispatch_ptr 0
		.amdhsa_user_sgpr_queue_ptr 0
		.amdhsa_user_sgpr_kernarg_segment_ptr 1
		.amdhsa_user_sgpr_dispatch_id 0
		.amdhsa_user_sgpr_private_segment_size 0
		.amdhsa_wavefront_size32 1
		.amdhsa_uses_dynamic_stack 0
		.amdhsa_enable_private_segment 0
		.amdhsa_system_sgpr_workgroup_id_x 1
		.amdhsa_system_sgpr_workgroup_id_y 0
		.amdhsa_system_sgpr_workgroup_id_z 0
		.amdhsa_system_sgpr_workgroup_info 0
		.amdhsa_system_vgpr_workitem_id 0
		.amdhsa_next_free_vgpr 12
		.amdhsa_next_free_sgpr 28
		.amdhsa_reserve_vcc 1
		.amdhsa_float_round_mode_32 0
		.amdhsa_float_round_mode_16_64 0
		.amdhsa_float_denorm_mode_32 3
		.amdhsa_float_denorm_mode_16_64 3
		.amdhsa_dx10_clamp 1
		.amdhsa_ieee_mode 1
		.amdhsa_fp16_overflow 0
		.amdhsa_workgroup_processor_mode 1
		.amdhsa_memory_ordered 1
		.amdhsa_forward_progress 0
		.amdhsa_shared_vgpr_count 0
		.amdhsa_exception_fp_ieee_invalid_op 0
		.amdhsa_exception_fp_denorm_src 0
		.amdhsa_exception_fp_ieee_div_zero 0
		.amdhsa_exception_fp_ieee_overflow 0
		.amdhsa_exception_fp_ieee_underflow 0
		.amdhsa_exception_fp_ieee_inexact 0
		.amdhsa_exception_int_div_zero 0
	.end_amdhsa_kernel
	.section	.text._ZL19k_bin_bcast_unravelIXadL_ZL6op_addffEE6__halffS0_JPKfS2_S2_S2_EEvPKT0_PKT1_PT2_15HIP_vector_typeIjLj3EESC_SC_jSC_SC_SC_SC_SC_SC_iiiiiiiiiiiDpT3_,"axG",@progbits,_ZL19k_bin_bcast_unravelIXadL_ZL6op_addffEE6__halffS0_JPKfS2_S2_S2_EEvPKT0_PKT1_PT2_15HIP_vector_typeIjLj3EESC_SC_jSC_SC_SC_SC_SC_SC_iiiiiiiiiiiDpT3_,comdat
.Lfunc_end60:
	.size	_ZL19k_bin_bcast_unravelIXadL_ZL6op_addffEE6__halffS0_JPKfS2_S2_S2_EEvPKT0_PKT1_PT2_15HIP_vector_typeIjLj3EESC_SC_jSC_SC_SC_SC_SC_SC_iiiiiiiiiiiDpT3_, .Lfunc_end60-_ZL19k_bin_bcast_unravelIXadL_ZL6op_addffEE6__halffS0_JPKfS2_S2_S2_EEvPKT0_PKT1_PT2_15HIP_vector_typeIjLj3EESC_SC_jSC_SC_SC_SC_SC_SC_iiiiiiiiiiiDpT3_
                                        ; -- End function
	.section	.AMDGPU.csdata,"",@progbits
; Kernel info:
; codeLenInByte = 912
; NumSgprs: 30
; NumVgprs: 12
; ScratchSize: 0
; MemoryBound: 0
; FloatMode: 240
; IeeeMode: 1
; LDSByteSize: 0 bytes/workgroup (compile time only)
; SGPRBlocks: 3
; VGPRBlocks: 1
; NumSGPRsForWavesPerEU: 30
; NumVGPRsForWavesPerEU: 12
; Occupancy: 16
; WaveLimiterHint : 1
; COMPUTE_PGM_RSRC2:SCRATCH_EN: 0
; COMPUTE_PGM_RSRC2:USER_SGPR: 15
; COMPUTE_PGM_RSRC2:TRAP_HANDLER: 0
; COMPUTE_PGM_RSRC2:TGID_X_EN: 1
; COMPUTE_PGM_RSRC2:TGID_Y_EN: 0
; COMPUTE_PGM_RSRC2:TGID_Z_EN: 0
; COMPUTE_PGM_RSRC2:TIDIG_COMP_CNT: 0
	.section	.text._ZL11k_bin_bcastIXadL_ZL6op_addffEE6__halffS0_JPKfS2_S2_S2_EEvPKT0_PKT1_PT2_iii15HIP_vector_typeIjLj3EESC_SC_SC_SC_iiiiiiiiiiiDpT3_,"axG",@progbits,_ZL11k_bin_bcastIXadL_ZL6op_addffEE6__halffS0_JPKfS2_S2_S2_EEvPKT0_PKT1_PT2_iii15HIP_vector_typeIjLj3EESC_SC_SC_SC_iiiiiiiiiiiDpT3_,comdat
	.globl	_ZL11k_bin_bcastIXadL_ZL6op_addffEE6__halffS0_JPKfS2_S2_S2_EEvPKT0_PKT1_PT2_iii15HIP_vector_typeIjLj3EESC_SC_SC_SC_iiiiiiiiiiiDpT3_ ; -- Begin function _ZL11k_bin_bcastIXadL_ZL6op_addffEE6__halffS0_JPKfS2_S2_S2_EEvPKT0_PKT1_PT2_iii15HIP_vector_typeIjLj3EESC_SC_SC_SC_iiiiiiiiiiiDpT3_
	.p2align	8
	.type	_ZL11k_bin_bcastIXadL_ZL6op_addffEE6__halffS0_JPKfS2_S2_S2_EEvPKT0_PKT1_PT2_iii15HIP_vector_typeIjLj3EESC_SC_SC_SC_iiiiiiiiiiiDpT3_,@function
_ZL11k_bin_bcastIXadL_ZL6op_addffEE6__halffS0_JPKfS2_S2_S2_EEvPKT0_PKT1_PT2_iii15HIP_vector_typeIjLj3EESC_SC_SC_SC_iiiiiiiiiiiDpT3_: ; @_ZL11k_bin_bcastIXadL_ZL6op_addffEE6__halffS0_JPKfS2_S2_S2_EEvPKT0_PKT1_PT2_iii15HIP_vector_typeIjLj3EESC_SC_SC_SC_iiiiiiiiiiiDpT3_
; %bb.0:
	s_clause 0x1
	s_load_b64 s[2:3], s[0:1], 0xbc
	s_load_b256 s[16:23], s[0:1], 0x18
	v_bfe_u32 v1, v0, 20, 10
	s_add_u32 s34, s0, 0xb0
	s_addc_u32 s35, s1, 0
	s_waitcnt lgkmcnt(0)
	s_and_b32 s3, s3, 0xffff
	s_delay_alu instid0(SALU_CYCLE_1) | instskip(SKIP_3) | instid1(VALU_DEP_3)
	v_mad_u64_u32 v[4:5], null, s15, s3, v[1:2]
	v_and_b32_e32 v2, 0x3ff, v0
	v_bfe_u32 v5, v0, 10, 10
	s_lshr_b32 s3, s2, 16
	v_mul_hi_u32 v1, v4, s19
	s_and_b32 s19, s2, 0xffff
	s_delay_alu instid0(VALU_DEP_1) | instskip(NEXT) | instid1(VALU_DEP_1)
	v_add_nc_u32_e32 v1, v4, v1
	v_lshrrev_b32_e32 v3, s20, v1
	s_delay_alu instid0(VALU_DEP_1) | instskip(SKIP_1) | instid1(VALU_DEP_2)
	v_mul_lo_u32 v6, v3, s21
	v_mad_u64_u32 v[0:1], null, s13, s19, v[2:3]
	v_mad_u64_u32 v[1:2], null, s14, s3, v[5:6]
	v_sub_nc_u32_e32 v4, v4, v6
	s_delay_alu instid0(VALU_DEP_3) | instskip(SKIP_1) | instid1(VALU_DEP_3)
	v_cmp_gt_u32_e32 vcc_lo, s16, v0
	v_cmp_gt_u32_e64 s3, s18, v3
	v_cmp_gt_u32_e64 s4, s21, v4
	;; [unrolled: 1-line block ×3, first 2 shown]
	s_delay_alu instid0(VALU_DEP_1)
	s_and_b32 s2, vcc_lo, s2
	s_delay_alu instid0(VALU_DEP_3) | instid1(SALU_CYCLE_1)
	s_and_b32 s2, s2, s3
	s_delay_alu instid0(VALU_DEP_2) | instid1(SALU_CYCLE_1)
	s_and_b32 s2, s2, s4
	s_delay_alu instid0(SALU_CYCLE_1)
	s_and_saveexec_b32 s3, s2
	s_cbranch_execz .LBB61_6
; %bb.1:
	v_cmp_gt_i32_e32 vcc_lo, s16, v0
	s_and_b32 exec_lo, exec_lo, vcc_lo
	s_cbranch_execz .LBB61_6
; %bb.2:
	s_clause 0x2
	s_load_b256 s[24:31], s[0:1], 0x3c
	s_load_b256 s[4:11], s[0:1], 0x60
	s_load_b128 s[12:15], s[0:1], 0x80
	s_waitcnt lgkmcnt(0)
	s_load_b32 s15, s[34:35], 0x0
	s_clause 0x1
	s_load_b32 s17, s[0:1], 0x5c
	s_load_b64 s[2:3], s[0:1], 0x0
	v_mul_hi_u32 v2, s24, v1
	v_mul_hi_u32 v5, s27, v3
	;; [unrolled: 1-line block ×3, first 2 shown]
	v_mul_lo_u32 v9, v4, s10
	v_mul_lo_u32 v10, v3, s9
	;; [unrolled: 1-line block ×3, first 2 shown]
	v_mov_b32_e32 v6, 0
	v_mul_lo_u32 v12, v4, s6
	v_add_nc_u32_e32 v2, v1, v2
	v_add_nc_u32_e32 v5, v3, v5
	s_delay_alu instid0(VALU_DEP_4) | instskip(SKIP_1) | instid1(VALU_DEP_4)
	v_dual_mov_b32 v8, v6 :: v_dual_add_nc_u32 v7, v4, v7
	v_mul_lo_u32 v13, v3, s5
	v_lshrrev_b32_e32 v2, s25, v2
	s_delay_alu instid0(VALU_DEP_4) | instskip(NEXT) | instid1(VALU_DEP_4)
	v_lshrrev_b32_e32 v15, s28, v5
	v_lshrrev_b32_e32 v16, s31, v7
	v_mul_lo_u32 v14, v1, s4
	s_clause 0x1
	s_load_b32 s6, s[0:1], 0x38
	s_load_b64 s[4:5], s[0:1], 0x10
	v_add3_u32 v5, v10, v11, v9
	v_mul_lo_u32 v9, v2, s26
	v_mul_lo_u32 v10, v15, s29
	s_waitcnt lgkmcnt(0)
	v_mul_lo_u32 v11, v16, s17
	s_load_b256 s[24:31], s[0:1], 0x90
	v_lshlrev_b64 v[5:6], 1, v[5:6]
	v_add3_u32 v7, v13, v14, v12
	s_cmp_lg_u64 s[2:3], 0
	v_mul_lo_u32 v2, s7, v0
	v_sub_nc_u32_e32 v1, v1, v9
	v_sub_nc_u32_e32 v3, v3, v10
	;; [unrolled: 1-line block ×3, first 2 shown]
	v_add_co_u32 v9, vcc_lo, s2, v5
	v_add_co_ci_u32_e32 v5, vcc_lo, s3, v6, vcc_lo
	v_lshlrev_b64 v[7:8], 1, v[7:8]
	s_delay_alu instid0(VALU_DEP_4)
	v_mul_lo_u32 v10, v4, s14
	v_mul_lo_u32 v3, v3, s13
	;; [unrolled: 1-line block ×3, first 2 shown]
	s_cselect_b32 vcc_lo, -1, 0
	s_mul_i32 s2, s15, s19
	v_cndmask_b32_e32 v5, 0, v5, vcc_lo
	v_cndmask_b32_e32 v4, 0, v9, vcc_lo
	v_add_co_u32 v6, vcc_lo, s4, v7
	v_add_co_ci_u32_e32 v7, vcc_lo, s5, v8, vcc_lo
	s_delay_alu instid0(VALU_DEP_3)
	v_cmp_ne_u64_e32 vcc_lo, 0, v[4:5]
	v_add3_u32 v8, v3, v10, v1
	s_mov_b32 s3, 0
	s_mul_i32 s4, s2, s7
	s_sub_i32 s5, 0, s6
	s_branch .LBB61_4
.LBB61_3:                               ;   in Loop: Header=BB61_4 Depth=1
	s_or_b32 exec_lo, exec_lo, s1
	v_mul_hi_u32 v3, s22, v0
	v_add_nc_u32_e32 v2, s4, v2
	s_delay_alu instid0(VALU_DEP_2) | instskip(NEXT) | instid1(VALU_DEP_1)
	v_add_nc_u32_e32 v3, v0, v3
	v_lshrrev_b32_e32 v3, s23, v3
	s_delay_alu instid0(VALU_DEP_1) | instskip(NEXT) | instid1(VALU_DEP_1)
	v_mad_u64_u32 v[9:10], null, s5, v3, v[0:1]
	v_mul_lo_u32 v3, v9, s11
	s_delay_alu instid0(VALU_DEP_1) | instskip(NEXT) | instid1(VALU_DEP_1)
	v_add_co_u32 v9, s0, v3, v8
	v_add_co_ci_u32_e64 v10, null, 0, 0, s0
	s_delay_alu instid0(VALU_DEP_1) | instskip(SKIP_1) | instid1(VALU_DEP_1)
	v_lshlrev_b64 v[9:10], 2, v[9:10]
	s_waitcnt lgkmcnt(0)
	v_add_co_u32 v11, s0, s24, v9
	s_delay_alu instid0(VALU_DEP_1) | instskip(SKIP_1) | instid1(VALU_DEP_1)
	v_add_co_ci_u32_e64 v12, s0, s25, v10, s0
	v_add_co_u32 v13, s0, s26, v9
	v_add_co_ci_u32_e64 v14, s0, s27, v10, s0
	global_load_b32 v3, v[11:12], off
	v_add_co_u32 v11, s0, s28, v9
	s_delay_alu instid0(VALU_DEP_1) | instskip(SKIP_2) | instid1(VALU_DEP_1)
	v_add_co_ci_u32_e64 v12, s0, s29, v10, s0
	global_load_b32 v13, v[13:14], off
	v_add_co_u32 v9, s0, s30, v9
	v_add_co_ci_u32_e64 v10, s0, s31, v10, s0
	global_load_b32 v11, v[11:12], off
	global_load_b32 v12, v[9:10], off
	s_waitcnt vmcnt(3)
	v_add_f32_e32 v1, v1, v3
	s_waitcnt vmcnt(2)
	s_delay_alu instid0(VALU_DEP_1) | instskip(SKIP_2) | instid1(VALU_DEP_2)
	v_add_f32_e32 v3, v1, v13
	v_ashrrev_i32_e32 v1, 31, v0
	s_waitcnt vmcnt(1)
	v_add_f32_e32 v3, v3, v11
	s_delay_alu instid0(VALU_DEP_2) | instskip(SKIP_2) | instid1(VALU_DEP_3)
	v_lshlrev_b64 v[9:10], 1, v[0:1]
	v_add_nc_u32_e32 v0, s2, v0
	s_waitcnt vmcnt(0)
	v_add_f32_e32 v1, v3, v12
	s_delay_alu instid0(VALU_DEP_2) | instskip(NEXT) | instid1(VALU_DEP_4)
	v_cmp_le_i32_e64 s0, s16, v0
	v_add_co_u32 v9, s1, v6, v9
	s_delay_alu instid0(VALU_DEP_3) | instskip(SKIP_1) | instid1(VALU_DEP_4)
	v_cvt_f16_f32_e32 v1, v1
	v_add_co_ci_u32_e64 v10, s1, v7, v10, s1
	s_or_b32 s3, s0, s3
	global_store_b16 v[9:10], v1, off
	s_and_not1_b32 exec_lo, exec_lo, s3
	s_cbranch_execz .LBB61_6
.LBB61_4:                               ; =>This Inner Loop Header: Depth=1
	v_mov_b32_e32 v1, 0
	s_and_saveexec_b32 s1, vcc_lo
	s_cbranch_execz .LBB61_3
; %bb.5:                                ;   in Loop: Header=BB61_4 Depth=1
	v_ashrrev_i32_e32 v3, 31, v2
	s_delay_alu instid0(VALU_DEP_1) | instskip(NEXT) | instid1(VALU_DEP_1)
	v_lshlrev_b64 v[9:10], 1, v[2:3]
	v_add_co_u32 v9, s0, v4, v9
	s_delay_alu instid0(VALU_DEP_1)
	v_add_co_ci_u32_e64 v10, s0, v5, v10, s0
	global_load_u16 v1, v[9:10], off
	s_waitcnt vmcnt(0)
	v_cvt_f32_f16_e32 v1, v1
	s_branch .LBB61_3
.LBB61_6:
	s_nop 0
	s_sendmsg sendmsg(MSG_DEALLOC_VGPRS)
	s_endpgm
	.section	.rodata,"a",@progbits
	.p2align	6, 0x0
	.amdhsa_kernel _ZL11k_bin_bcastIXadL_ZL6op_addffEE6__halffS0_JPKfS2_S2_S2_EEvPKT0_PKT1_PT2_iii15HIP_vector_typeIjLj3EESC_SC_SC_SC_iiiiiiiiiiiDpT3_
		.amdhsa_group_segment_fixed_size 0
		.amdhsa_private_segment_fixed_size 0
		.amdhsa_kernarg_size 432
		.amdhsa_user_sgpr_count 13
		.amdhsa_user_sgpr_dispatch_ptr 0
		.amdhsa_user_sgpr_queue_ptr 0
		.amdhsa_user_sgpr_kernarg_segment_ptr 1
		.amdhsa_user_sgpr_dispatch_id 0
		.amdhsa_user_sgpr_private_segment_size 0
		.amdhsa_wavefront_size32 1
		.amdhsa_uses_dynamic_stack 0
		.amdhsa_enable_private_segment 0
		.amdhsa_system_sgpr_workgroup_id_x 1
		.amdhsa_system_sgpr_workgroup_id_y 1
		.amdhsa_system_sgpr_workgroup_id_z 1
		.amdhsa_system_sgpr_workgroup_info 0
		.amdhsa_system_vgpr_workitem_id 2
		.amdhsa_next_free_vgpr 17
		.amdhsa_next_free_sgpr 36
		.amdhsa_reserve_vcc 1
		.amdhsa_float_round_mode_32 0
		.amdhsa_float_round_mode_16_64 0
		.amdhsa_float_denorm_mode_32 3
		.amdhsa_float_denorm_mode_16_64 3
		.amdhsa_dx10_clamp 1
		.amdhsa_ieee_mode 1
		.amdhsa_fp16_overflow 0
		.amdhsa_workgroup_processor_mode 1
		.amdhsa_memory_ordered 1
		.amdhsa_forward_progress 0
		.amdhsa_shared_vgpr_count 0
		.amdhsa_exception_fp_ieee_invalid_op 0
		.amdhsa_exception_fp_denorm_src 0
		.amdhsa_exception_fp_ieee_div_zero 0
		.amdhsa_exception_fp_ieee_overflow 0
		.amdhsa_exception_fp_ieee_underflow 0
		.amdhsa_exception_fp_ieee_inexact 0
		.amdhsa_exception_int_div_zero 0
	.end_amdhsa_kernel
	.section	.text._ZL11k_bin_bcastIXadL_ZL6op_addffEE6__halffS0_JPKfS2_S2_S2_EEvPKT0_PKT1_PT2_iii15HIP_vector_typeIjLj3EESC_SC_SC_SC_iiiiiiiiiiiDpT3_,"axG",@progbits,_ZL11k_bin_bcastIXadL_ZL6op_addffEE6__halffS0_JPKfS2_S2_S2_EEvPKT0_PKT1_PT2_iii15HIP_vector_typeIjLj3EESC_SC_SC_SC_iiiiiiiiiiiDpT3_,comdat
.Lfunc_end61:
	.size	_ZL11k_bin_bcastIXadL_ZL6op_addffEE6__halffS0_JPKfS2_S2_S2_EEvPKT0_PKT1_PT2_iii15HIP_vector_typeIjLj3EESC_SC_SC_SC_iiiiiiiiiiiDpT3_, .Lfunc_end61-_ZL11k_bin_bcastIXadL_ZL6op_addffEE6__halffS0_JPKfS2_S2_S2_EEvPKT0_PKT1_PT2_iii15HIP_vector_typeIjLj3EESC_SC_SC_SC_iiiiiiiiiiiDpT3_
                                        ; -- End function
	.section	.AMDGPU.csdata,"",@progbits
; Kernel info:
; codeLenInByte = 988
; NumSgprs: 38
; NumVgprs: 17
; ScratchSize: 0
; MemoryBound: 0
; FloatMode: 240
; IeeeMode: 1
; LDSByteSize: 0 bytes/workgroup (compile time only)
; SGPRBlocks: 4
; VGPRBlocks: 2
; NumSGPRsForWavesPerEU: 38
; NumVGPRsForWavesPerEU: 17
; Occupancy: 16
; WaveLimiterHint : 1
; COMPUTE_PGM_RSRC2:SCRATCH_EN: 0
; COMPUTE_PGM_RSRC2:USER_SGPR: 13
; COMPUTE_PGM_RSRC2:TRAP_HANDLER: 0
; COMPUTE_PGM_RSRC2:TGID_X_EN: 1
; COMPUTE_PGM_RSRC2:TGID_Y_EN: 1
; COMPUTE_PGM_RSRC2:TGID_Z_EN: 1
; COMPUTE_PGM_RSRC2:TIDIG_COMP_CNT: 2
	.section	.text._ZL19k_bin_bcast_unravelIXadL_ZL6op_addffEE6__halfffJPKfS2_S2_S2_EEvPKT0_PKT1_PT2_15HIP_vector_typeIjLj3EESC_SC_jSC_SC_SC_SC_SC_SC_iiiiiiiiiiiDpT3_,"axG",@progbits,_ZL19k_bin_bcast_unravelIXadL_ZL6op_addffEE6__halfffJPKfS2_S2_S2_EEvPKT0_PKT1_PT2_15HIP_vector_typeIjLj3EESC_SC_jSC_SC_SC_SC_SC_SC_iiiiiiiiiiiDpT3_,comdat
	.globl	_ZL19k_bin_bcast_unravelIXadL_ZL6op_addffEE6__halfffJPKfS2_S2_S2_EEvPKT0_PKT1_PT2_15HIP_vector_typeIjLj3EESC_SC_jSC_SC_SC_SC_SC_SC_iiiiiiiiiiiDpT3_ ; -- Begin function _ZL19k_bin_bcast_unravelIXadL_ZL6op_addffEE6__halfffJPKfS2_S2_S2_EEvPKT0_PKT1_PT2_15HIP_vector_typeIjLj3EESC_SC_jSC_SC_SC_SC_SC_SC_iiiiiiiiiiiDpT3_
	.p2align	8
	.type	_ZL19k_bin_bcast_unravelIXadL_ZL6op_addffEE6__halfffJPKfS2_S2_S2_EEvPKT0_PKT1_PT2_15HIP_vector_typeIjLj3EESC_SC_jSC_SC_SC_SC_SC_SC_iiiiiiiiiiiDpT3_,@function
_ZL19k_bin_bcast_unravelIXadL_ZL6op_addffEE6__halfffJPKfS2_S2_S2_EEvPKT0_PKT1_PT2_15HIP_vector_typeIjLj3EESC_SC_jSC_SC_SC_SC_SC_SC_iiiiiiiiiiiDpT3_: ; @_ZL19k_bin_bcast_unravelIXadL_ZL6op_addffEE6__halfffJPKfS2_S2_S2_EEvPKT0_PKT1_PT2_15HIP_vector_typeIjLj3EESC_SC_jSC_SC_SC_SC_SC_SC_iiiiiiiiiiiDpT3_
; %bb.0:
	s_clause 0x1
	s_load_b32 s2, s[0:1], 0xe4
	s_load_b256 s[4:11], s[0:1], 0x38
	s_waitcnt lgkmcnt(0)
	s_and_b32 s2, s2, 0xffff
	s_delay_alu instid0(SALU_CYCLE_1) | instskip(SKIP_3) | instid1(VALU_DEP_1)
	v_mad_u64_u32 v[2:3], null, s15, s2, v[0:1]
	s_clause 0x1
	s_load_b128 s[12:15], s[0:1], 0x18
	s_load_b32 s2, s[0:1], 0x2c
	v_mul_hi_u32 v0, v2, s6
	s_delay_alu instid0(VALU_DEP_1) | instskip(NEXT) | instid1(VALU_DEP_1)
	v_add_nc_u32_e32 v0, v2, v0
	v_lshrrev_b32_e32 v1, s7, v0
	s_delay_alu instid0(VALU_DEP_1) | instskip(NEXT) | instid1(VALU_DEP_1)
	v_mul_lo_u32 v0, v1, s8
	v_sub_nc_u32_e32 v0, v2, v0
	s_delay_alu instid0(VALU_DEP_1) | instskip(NEXT) | instid1(VALU_DEP_1)
	v_mul_hi_u32 v2, v0, s9
	v_add_nc_u32_e32 v2, v0, v2
	s_delay_alu instid0(VALU_DEP_1) | instskip(NEXT) | instid1(VALU_DEP_1)
	v_lshrrev_b32_e32 v2, s10, v2
	v_mul_lo_u32 v3, v2, s11
	v_cmp_gt_u32_e64 s3, s4, v2
	v_cmp_gt_u32_e64 s4, s5, v1
	s_delay_alu instid0(VALU_DEP_3) | instskip(SKIP_1) | instid1(VALU_DEP_1)
	v_sub_nc_u32_e32 v0, v0, v3
	s_waitcnt lgkmcnt(0)
	v_mul_hi_u32 v3, v0, s12
	s_delay_alu instid0(VALU_DEP_1) | instskip(NEXT) | instid1(VALU_DEP_1)
	v_add_nc_u32_e32 v3, v0, v3
	v_lshrrev_b32_e32 v3, s13, v3
	s_delay_alu instid0(VALU_DEP_1) | instskip(SKIP_1) | instid1(VALU_DEP_2)
	v_mul_lo_u32 v4, v3, s14
	v_cmp_gt_u32_e64 s2, s2, v3
	v_sub_nc_u32_e32 v0, v0, v4
	s_delay_alu instid0(VALU_DEP_1) | instskip(NEXT) | instid1(VALU_DEP_3)
	v_cmp_gt_u32_e32 vcc_lo, s14, v0
	s_and_b32 s2, vcc_lo, s2
	s_delay_alu instid0(SALU_CYCLE_1) | instskip(NEXT) | instid1(SALU_CYCLE_1)
	s_and_b32 s2, s2, s3
	s_and_b32 s2, s4, s2
	s_delay_alu instid0(SALU_CYCLE_1)
	s_and_saveexec_b32 s3, s2
	s_cbranch_execz .LBB62_5
; %bb.1:
	s_clause 0x4
	s_load_b64 s[2:3], s[0:1], 0x0
	s_load_b128 s[20:23], s[0:1], 0xa8
	s_load_b256 s[4:11], s[0:1], 0x88
	s_load_b128 s[24:27], s[0:1], 0x78
	s_load_b256 s[12:19], s[0:1], 0x58
	s_waitcnt lgkmcnt(0)
	s_cmp_eq_u64 s[2:3], 0
	s_cbranch_scc1 .LBB62_3
; %bb.2:
	v_mul_lo_u32 v4, v1, s10
	v_mul_lo_u32 v6, v2, s9
	;; [unrolled: 1-line block ×3, first 2 shown]
	v_mov_b32_e32 v5, 0
	s_delay_alu instid0(VALU_DEP_2) | instskip(NEXT) | instid1(VALU_DEP_1)
	v_add3_u32 v4, v6, v4, v7
	v_lshlrev_b64 v[6:7], 1, v[4:5]
	v_mul_lo_u32 v4, v0, s7
	s_delay_alu instid0(VALU_DEP_2) | instskip(NEXT) | instid1(VALU_DEP_3)
	v_add_co_u32 v6, vcc_lo, s2, v6
	v_add_co_ci_u32_e32 v7, vcc_lo, s3, v7, vcc_lo
	s_delay_alu instid0(VALU_DEP_3) | instskip(NEXT) | instid1(VALU_DEP_1)
	v_lshlrev_b64 v[4:5], 1, v[4:5]
	v_add_co_u32 v4, vcc_lo, v6, v4
	s_delay_alu instid0(VALU_DEP_2)
	v_add_co_ci_u32_e32 v5, vcc_lo, v7, v5, vcc_lo
	global_load_u16 v4, v[4:5], off
	s_waitcnt vmcnt(0)
	v_cvt_f32_f16_e32 v4, v4
	s_branch .LBB62_4
.LBB62_3:
	v_mov_b32_e32 v4, 0
.LBB62_4:
	v_mul_hi_u32 v5, s25, v1
	v_mul_hi_u32 v6, s18, v2
	;; [unrolled: 1-line block ×4, first 2 shown]
	s_delay_alu instid0(VALU_DEP_4) | instskip(NEXT) | instid1(VALU_DEP_4)
	v_add_nc_u32_e32 v5, v1, v5
	v_add_nc_u32_e32 v6, v2, v6
	s_delay_alu instid0(VALU_DEP_4) | instskip(NEXT) | instid1(VALU_DEP_4)
	v_add_nc_u32_e32 v7, v3, v7
	v_add_nc_u32_e32 v8, v0, v8
	s_delay_alu instid0(VALU_DEP_4) | instskip(NEXT) | instid1(VALU_DEP_4)
	v_lshrrev_b32_e32 v5, s26, v5
	v_lshrrev_b32_e32 v6, s19, v6
	s_delay_alu instid0(VALU_DEP_4) | instskip(NEXT) | instid1(VALU_DEP_4)
	v_lshrrev_b32_e32 v7, s16, v7
	v_lshrrev_b32_e32 v8, s13, v8
	s_delay_alu instid0(VALU_DEP_4) | instskip(NEXT) | instid1(VALU_DEP_4)
	v_mul_lo_u32 v5, v5, s27
	v_mul_lo_u32 v6, v6, s24
	s_delay_alu instid0(VALU_DEP_4) | instskip(NEXT) | instid1(VALU_DEP_4)
	v_mul_lo_u32 v7, v7, s17
	v_mul_lo_u32 v8, v8, s14
	s_delay_alu instid0(VALU_DEP_4) | instskip(NEXT) | instid1(VALU_DEP_4)
	v_sub_nc_u32_e32 v5, v1, v5
	v_sub_nc_u32_e32 v6, v2, v6
	s_delay_alu instid0(VALU_DEP_4) | instskip(NEXT) | instid1(VALU_DEP_4)
	v_sub_nc_u32_e32 v7, v3, v7
	v_sub_nc_u32_e32 v8, v0, v8
	v_mul_lo_u32 v1, v1, s6
	v_mul_lo_u32 v5, v5, s22
	;; [unrolled: 1-line block ×5, first 2 shown]
	s_clause 0x1
	s_load_b256 s[8:15], s[0:1], 0xb8
	s_load_b64 s[0:1], s[0:1], 0x10
	v_mul_lo_u32 v2, v2, s5
	s_delay_alu instid0(VALU_DEP_3) | instskip(NEXT) | instid1(VALU_DEP_3)
	v_add3_u32 v5, v6, v5, v7
	v_ashrrev_i32_e32 v6, 31, v8
	s_delay_alu instid0(VALU_DEP_2) | instskip(SKIP_1) | instid1(VALU_DEP_2)
	v_ashrrev_i32_e32 v7, 31, v5
	v_add_co_u32 v5, vcc_lo, v8, v5
	v_add_co_ci_u32_e32 v6, vcc_lo, v6, v7, vcc_lo
	s_delay_alu instid0(VALU_DEP_1) | instskip(SKIP_1) | instid1(VALU_DEP_1)
	v_lshlrev_b64 v[5:6], 2, v[5:6]
	s_waitcnt lgkmcnt(0)
	v_add_co_u32 v7, vcc_lo, s8, v5
	s_delay_alu instid0(VALU_DEP_2)
	v_add_co_ci_u32_e32 v8, vcc_lo, s9, v6, vcc_lo
	v_add_co_u32 v9, vcc_lo, s10, v5
	v_add_co_ci_u32_e32 v10, vcc_lo, s11, v6, vcc_lo
	global_load_b32 v11, v[7:8], off
	v_add_co_u32 v7, vcc_lo, s12, v5
	v_add_co_ci_u32_e32 v8, vcc_lo, s13, v6, vcc_lo
	global_load_b32 v9, v[9:10], off
	;; [unrolled: 3-line block ×3, first 2 shown]
	global_load_b32 v5, v[5:6], off
	v_mul_lo_u32 v6, v3, s4
	v_mov_b32_e32 v3, 0
	s_delay_alu instid0(VALU_DEP_2) | instskip(NEXT) | instid1(VALU_DEP_2)
	v_add3_u32 v2, v2, v1, v6
	v_mov_b32_e32 v1, v3
	s_delay_alu instid0(VALU_DEP_2) | instskip(NEXT) | instid1(VALU_DEP_2)
	v_lshlrev_b64 v[2:3], 2, v[2:3]
	v_lshlrev_b64 v[0:1], 2, v[0:1]
	s_delay_alu instid0(VALU_DEP_2) | instskip(NEXT) | instid1(VALU_DEP_3)
	v_add_co_u32 v2, vcc_lo, s0, v2
	v_add_co_ci_u32_e32 v3, vcc_lo, s1, v3, vcc_lo
	s_delay_alu instid0(VALU_DEP_2) | instskip(NEXT) | instid1(VALU_DEP_2)
	v_add_co_u32 v0, vcc_lo, v2, v0
	v_add_co_ci_u32_e32 v1, vcc_lo, v3, v1, vcc_lo
	s_waitcnt vmcnt(3)
	v_add_f32_e32 v4, v4, v11
	s_waitcnt vmcnt(2)
	s_delay_alu instid0(VALU_DEP_1) | instskip(SKIP_1) | instid1(VALU_DEP_1)
	v_add_f32_e32 v4, v4, v9
	s_waitcnt vmcnt(1)
	v_add_f32_e32 v4, v4, v7
	s_waitcnt vmcnt(0)
	s_delay_alu instid0(VALU_DEP_1)
	v_add_f32_e32 v4, v4, v5
	global_store_b32 v[0:1], v4, off
.LBB62_5:
	s_nop 0
	s_sendmsg sendmsg(MSG_DEALLOC_VGPRS)
	s_endpgm
	.section	.rodata,"a",@progbits
	.p2align	6, 0x0
	.amdhsa_kernel _ZL19k_bin_bcast_unravelIXadL_ZL6op_addffEE6__halfffJPKfS2_S2_S2_EEvPKT0_PKT1_PT2_15HIP_vector_typeIjLj3EESC_SC_jSC_SC_SC_SC_SC_SC_iiiiiiiiiiiDpT3_
		.amdhsa_group_segment_fixed_size 0
		.amdhsa_private_segment_fixed_size 0
		.amdhsa_kernarg_size 472
		.amdhsa_user_sgpr_count 15
		.amdhsa_user_sgpr_dispatch_ptr 0
		.amdhsa_user_sgpr_queue_ptr 0
		.amdhsa_user_sgpr_kernarg_segment_ptr 1
		.amdhsa_user_sgpr_dispatch_id 0
		.amdhsa_user_sgpr_private_segment_size 0
		.amdhsa_wavefront_size32 1
		.amdhsa_uses_dynamic_stack 0
		.amdhsa_enable_private_segment 0
		.amdhsa_system_sgpr_workgroup_id_x 1
		.amdhsa_system_sgpr_workgroup_id_y 0
		.amdhsa_system_sgpr_workgroup_id_z 0
		.amdhsa_system_sgpr_workgroup_info 0
		.amdhsa_system_vgpr_workitem_id 0
		.amdhsa_next_free_vgpr 12
		.amdhsa_next_free_sgpr 28
		.amdhsa_reserve_vcc 1
		.amdhsa_float_round_mode_32 0
		.amdhsa_float_round_mode_16_64 0
		.amdhsa_float_denorm_mode_32 3
		.amdhsa_float_denorm_mode_16_64 3
		.amdhsa_dx10_clamp 1
		.amdhsa_ieee_mode 1
		.amdhsa_fp16_overflow 0
		.amdhsa_workgroup_processor_mode 1
		.amdhsa_memory_ordered 1
		.amdhsa_forward_progress 0
		.amdhsa_shared_vgpr_count 0
		.amdhsa_exception_fp_ieee_invalid_op 0
		.amdhsa_exception_fp_denorm_src 0
		.amdhsa_exception_fp_ieee_div_zero 0
		.amdhsa_exception_fp_ieee_overflow 0
		.amdhsa_exception_fp_ieee_underflow 0
		.amdhsa_exception_fp_ieee_inexact 0
		.amdhsa_exception_int_div_zero 0
	.end_amdhsa_kernel
	.section	.text._ZL19k_bin_bcast_unravelIXadL_ZL6op_addffEE6__halfffJPKfS2_S2_S2_EEvPKT0_PKT1_PT2_15HIP_vector_typeIjLj3EESC_SC_jSC_SC_SC_SC_SC_SC_iiiiiiiiiiiDpT3_,"axG",@progbits,_ZL19k_bin_bcast_unravelIXadL_ZL6op_addffEE6__halfffJPKfS2_S2_S2_EEvPKT0_PKT1_PT2_15HIP_vector_typeIjLj3EESC_SC_jSC_SC_SC_SC_SC_SC_iiiiiiiiiiiDpT3_,comdat
.Lfunc_end62:
	.size	_ZL19k_bin_bcast_unravelIXadL_ZL6op_addffEE6__halfffJPKfS2_S2_S2_EEvPKT0_PKT1_PT2_15HIP_vector_typeIjLj3EESC_SC_jSC_SC_SC_SC_SC_SC_iiiiiiiiiiiDpT3_, .Lfunc_end62-_ZL19k_bin_bcast_unravelIXadL_ZL6op_addffEE6__halfffJPKfS2_S2_S2_EEvPKT0_PKT1_PT2_15HIP_vector_typeIjLj3EESC_SC_jSC_SC_SC_SC_SC_SC_iiiiiiiiiiiDpT3_
                                        ; -- End function
	.section	.AMDGPU.csdata,"",@progbits
; Kernel info:
; codeLenInByte = 908
; NumSgprs: 30
; NumVgprs: 12
; ScratchSize: 0
; MemoryBound: 0
; FloatMode: 240
; IeeeMode: 1
; LDSByteSize: 0 bytes/workgroup (compile time only)
; SGPRBlocks: 3
; VGPRBlocks: 1
; NumSGPRsForWavesPerEU: 30
; NumVGPRsForWavesPerEU: 12
; Occupancy: 16
; WaveLimiterHint : 1
; COMPUTE_PGM_RSRC2:SCRATCH_EN: 0
; COMPUTE_PGM_RSRC2:USER_SGPR: 15
; COMPUTE_PGM_RSRC2:TRAP_HANDLER: 0
; COMPUTE_PGM_RSRC2:TGID_X_EN: 1
; COMPUTE_PGM_RSRC2:TGID_Y_EN: 0
; COMPUTE_PGM_RSRC2:TGID_Z_EN: 0
; COMPUTE_PGM_RSRC2:TIDIG_COMP_CNT: 0
	.section	.text._ZL11k_bin_bcastIXadL_ZL6op_addffEE6__halfffJPKfS2_S2_S2_EEvPKT0_PKT1_PT2_iii15HIP_vector_typeIjLj3EESC_SC_SC_SC_iiiiiiiiiiiDpT3_,"axG",@progbits,_ZL11k_bin_bcastIXadL_ZL6op_addffEE6__halfffJPKfS2_S2_S2_EEvPKT0_PKT1_PT2_iii15HIP_vector_typeIjLj3EESC_SC_SC_SC_iiiiiiiiiiiDpT3_,comdat
	.globl	_ZL11k_bin_bcastIXadL_ZL6op_addffEE6__halfffJPKfS2_S2_S2_EEvPKT0_PKT1_PT2_iii15HIP_vector_typeIjLj3EESC_SC_SC_SC_iiiiiiiiiiiDpT3_ ; -- Begin function _ZL11k_bin_bcastIXadL_ZL6op_addffEE6__halfffJPKfS2_S2_S2_EEvPKT0_PKT1_PT2_iii15HIP_vector_typeIjLj3EESC_SC_SC_SC_iiiiiiiiiiiDpT3_
	.p2align	8
	.type	_ZL11k_bin_bcastIXadL_ZL6op_addffEE6__halfffJPKfS2_S2_S2_EEvPKT0_PKT1_PT2_iii15HIP_vector_typeIjLj3EESC_SC_SC_SC_iiiiiiiiiiiDpT3_,@function
_ZL11k_bin_bcastIXadL_ZL6op_addffEE6__halfffJPKfS2_S2_S2_EEvPKT0_PKT1_PT2_iii15HIP_vector_typeIjLj3EESC_SC_SC_SC_iiiiiiiiiiiDpT3_: ; @_ZL11k_bin_bcastIXadL_ZL6op_addffEE6__halfffJPKfS2_S2_S2_EEvPKT0_PKT1_PT2_iii15HIP_vector_typeIjLj3EESC_SC_SC_SC_iiiiiiiiiiiDpT3_
; %bb.0:
	s_clause 0x1
	s_load_b64 s[2:3], s[0:1], 0xbc
	s_load_b256 s[16:23], s[0:1], 0x18
	v_bfe_u32 v1, v0, 20, 10
	s_add_u32 s34, s0, 0xb0
	s_addc_u32 s35, s1, 0
	s_waitcnt lgkmcnt(0)
	s_and_b32 s3, s3, 0xffff
	s_delay_alu instid0(SALU_CYCLE_1) | instskip(SKIP_3) | instid1(VALU_DEP_3)
	v_mad_u64_u32 v[4:5], null, s15, s3, v[1:2]
	v_and_b32_e32 v2, 0x3ff, v0
	v_bfe_u32 v5, v0, 10, 10
	s_lshr_b32 s3, s2, 16
	v_mul_hi_u32 v1, v4, s19
	s_and_b32 s19, s2, 0xffff
	s_delay_alu instid0(VALU_DEP_1) | instskip(NEXT) | instid1(VALU_DEP_1)
	v_add_nc_u32_e32 v1, v4, v1
	v_lshrrev_b32_e32 v3, s20, v1
	s_delay_alu instid0(VALU_DEP_1) | instskip(SKIP_1) | instid1(VALU_DEP_2)
	v_mul_lo_u32 v6, v3, s21
	v_mad_u64_u32 v[0:1], null, s13, s19, v[2:3]
	v_mad_u64_u32 v[1:2], null, s14, s3, v[5:6]
	v_sub_nc_u32_e32 v4, v4, v6
	s_delay_alu instid0(VALU_DEP_3) | instskip(SKIP_1) | instid1(VALU_DEP_3)
	v_cmp_gt_u32_e32 vcc_lo, s16, v0
	v_cmp_gt_u32_e64 s3, s18, v3
	v_cmp_gt_u32_e64 s4, s21, v4
	;; [unrolled: 1-line block ×3, first 2 shown]
	s_delay_alu instid0(VALU_DEP_1)
	s_and_b32 s2, vcc_lo, s2
	s_delay_alu instid0(VALU_DEP_3) | instid1(SALU_CYCLE_1)
	s_and_b32 s2, s2, s3
	s_delay_alu instid0(VALU_DEP_2) | instid1(SALU_CYCLE_1)
	s_and_b32 s2, s2, s4
	s_delay_alu instid0(SALU_CYCLE_1)
	s_and_saveexec_b32 s3, s2
	s_cbranch_execz .LBB63_6
; %bb.1:
	v_cmp_gt_i32_e32 vcc_lo, s16, v0
	s_and_b32 exec_lo, exec_lo, vcc_lo
	s_cbranch_execz .LBB63_6
; %bb.2:
	s_clause 0x2
	s_load_b256 s[24:31], s[0:1], 0x3c
	s_load_b256 s[4:11], s[0:1], 0x60
	s_load_b128 s[12:15], s[0:1], 0x80
	s_waitcnt lgkmcnt(0)
	s_load_b32 s15, s[34:35], 0x0
	s_clause 0x1
	s_load_b32 s17, s[0:1], 0x5c
	s_load_b64 s[2:3], s[0:1], 0x0
	v_mul_hi_u32 v2, s24, v1
	v_mul_hi_u32 v5, s27, v3
	;; [unrolled: 1-line block ×3, first 2 shown]
	v_mul_lo_u32 v9, v4, s10
	v_mul_lo_u32 v10, v3, s9
	;; [unrolled: 1-line block ×3, first 2 shown]
	v_mov_b32_e32 v6, 0
	v_mul_lo_u32 v12, v4, s6
	v_add_nc_u32_e32 v2, v1, v2
	v_add_nc_u32_e32 v5, v3, v5
	s_delay_alu instid0(VALU_DEP_4) | instskip(SKIP_1) | instid1(VALU_DEP_4)
	v_dual_mov_b32 v8, v6 :: v_dual_add_nc_u32 v7, v4, v7
	v_mul_lo_u32 v13, v3, s5
	v_lshrrev_b32_e32 v2, s25, v2
	s_delay_alu instid0(VALU_DEP_4) | instskip(NEXT) | instid1(VALU_DEP_4)
	v_lshrrev_b32_e32 v15, s28, v5
	v_lshrrev_b32_e32 v16, s31, v7
	v_mul_lo_u32 v14, v1, s4
	s_clause 0x1
	s_load_b32 s6, s[0:1], 0x38
	s_load_b64 s[4:5], s[0:1], 0x10
	v_add3_u32 v5, v10, v11, v9
	v_mul_lo_u32 v9, v2, s26
	v_mul_lo_u32 v10, v15, s29
	s_waitcnt lgkmcnt(0)
	v_mul_lo_u32 v11, v16, s17
	s_load_b256 s[24:31], s[0:1], 0x90
	v_lshlrev_b64 v[5:6], 1, v[5:6]
	v_add3_u32 v7, v13, v14, v12
	s_cmp_lg_u64 s[2:3], 0
	v_mul_lo_u32 v2, s7, v0
	v_sub_nc_u32_e32 v1, v1, v9
	v_sub_nc_u32_e32 v3, v3, v10
	;; [unrolled: 1-line block ×3, first 2 shown]
	v_add_co_u32 v9, vcc_lo, s2, v5
	v_add_co_ci_u32_e32 v5, vcc_lo, s3, v6, vcc_lo
	v_lshlrev_b64 v[7:8], 2, v[7:8]
	s_delay_alu instid0(VALU_DEP_4)
	v_mul_lo_u32 v10, v4, s14
	v_mul_lo_u32 v3, v3, s13
	;; [unrolled: 1-line block ×3, first 2 shown]
	s_cselect_b32 vcc_lo, -1, 0
	s_mul_i32 s2, s15, s19
	v_cndmask_b32_e32 v5, 0, v5, vcc_lo
	v_cndmask_b32_e32 v4, 0, v9, vcc_lo
	v_add_co_u32 v6, vcc_lo, s4, v7
	v_add_co_ci_u32_e32 v7, vcc_lo, s5, v8, vcc_lo
	s_delay_alu instid0(VALU_DEP_3)
	v_cmp_ne_u64_e32 vcc_lo, 0, v[4:5]
	v_add3_u32 v8, v3, v10, v1
	s_mov_b32 s3, 0
	s_mul_i32 s4, s2, s7
	s_sub_i32 s5, 0, s6
	s_branch .LBB63_4
.LBB63_3:                               ;   in Loop: Header=BB63_4 Depth=1
	s_or_b32 exec_lo, exec_lo, s1
	v_mul_hi_u32 v3, s22, v0
	v_add_nc_u32_e32 v2, s4, v2
	s_delay_alu instid0(VALU_DEP_2) | instskip(NEXT) | instid1(VALU_DEP_1)
	v_add_nc_u32_e32 v3, v0, v3
	v_lshrrev_b32_e32 v3, s23, v3
	s_delay_alu instid0(VALU_DEP_1) | instskip(NEXT) | instid1(VALU_DEP_1)
	v_mad_u64_u32 v[9:10], null, s5, v3, v[0:1]
	v_mul_lo_u32 v3, v9, s11
	s_delay_alu instid0(VALU_DEP_1) | instskip(NEXT) | instid1(VALU_DEP_1)
	v_add_co_u32 v9, s0, v3, v8
	v_add_co_ci_u32_e64 v10, null, 0, 0, s0
	s_delay_alu instid0(VALU_DEP_1) | instskip(SKIP_1) | instid1(VALU_DEP_1)
	v_lshlrev_b64 v[9:10], 2, v[9:10]
	s_waitcnt lgkmcnt(0)
	v_add_co_u32 v11, s0, s24, v9
	s_delay_alu instid0(VALU_DEP_1) | instskip(SKIP_1) | instid1(VALU_DEP_1)
	v_add_co_ci_u32_e64 v12, s0, s25, v10, s0
	v_add_co_u32 v13, s0, s26, v9
	v_add_co_ci_u32_e64 v14, s0, s27, v10, s0
	global_load_b32 v3, v[11:12], off
	v_add_co_u32 v11, s0, s28, v9
	s_delay_alu instid0(VALU_DEP_1) | instskip(SKIP_2) | instid1(VALU_DEP_1)
	v_add_co_ci_u32_e64 v12, s0, s29, v10, s0
	global_load_b32 v13, v[13:14], off
	v_add_co_u32 v9, s0, s30, v9
	v_add_co_ci_u32_e64 v10, s0, s31, v10, s0
	global_load_b32 v11, v[11:12], off
	global_load_b32 v12, v[9:10], off
	s_waitcnt vmcnt(3)
	v_add_f32_e32 v3, v1, v3
	v_ashrrev_i32_e32 v1, 31, v0
	s_delay_alu instid0(VALU_DEP_1) | instskip(SKIP_1) | instid1(VALU_DEP_3)
	v_lshlrev_b64 v[9:10], 2, v[0:1]
	s_waitcnt vmcnt(2)
	v_dual_add_f32 v3, v3, v13 :: v_dual_add_nc_u32 v0, s2, v0
	s_delay_alu instid0(VALU_DEP_1) | instskip(SKIP_1) | instid1(VALU_DEP_2)
	v_cmp_le_i32_e64 s0, s16, v0
	s_waitcnt vmcnt(1)
	v_add_f32_e32 v1, v3, v11
	v_add_co_u32 v9, s1, v6, v9
	s_delay_alu instid0(VALU_DEP_1) | instskip(SKIP_1) | instid1(VALU_DEP_3)
	v_add_co_ci_u32_e64 v10, s1, v7, v10, s1
	s_waitcnt vmcnt(0)
	v_add_f32_e32 v1, v1, v12
	s_or_b32 s3, s0, s3
	global_store_b32 v[9:10], v1, off
	s_and_not1_b32 exec_lo, exec_lo, s3
	s_cbranch_execz .LBB63_6
.LBB63_4:                               ; =>This Inner Loop Header: Depth=1
	v_mov_b32_e32 v1, 0
	s_and_saveexec_b32 s1, vcc_lo
	s_cbranch_execz .LBB63_3
; %bb.5:                                ;   in Loop: Header=BB63_4 Depth=1
	v_ashrrev_i32_e32 v3, 31, v2
	s_delay_alu instid0(VALU_DEP_1) | instskip(NEXT) | instid1(VALU_DEP_1)
	v_lshlrev_b64 v[9:10], 1, v[2:3]
	v_add_co_u32 v9, s0, v4, v9
	s_delay_alu instid0(VALU_DEP_1)
	v_add_co_ci_u32_e64 v10, s0, v5, v10, s0
	global_load_u16 v1, v[9:10], off
	s_waitcnt vmcnt(0)
	v_cvt_f32_f16_e32 v1, v1
	s_branch .LBB63_3
.LBB63_6:
	s_nop 0
	s_sendmsg sendmsg(MSG_DEALLOC_VGPRS)
	s_endpgm
	.section	.rodata,"a",@progbits
	.p2align	6, 0x0
	.amdhsa_kernel _ZL11k_bin_bcastIXadL_ZL6op_addffEE6__halfffJPKfS2_S2_S2_EEvPKT0_PKT1_PT2_iii15HIP_vector_typeIjLj3EESC_SC_SC_SC_iiiiiiiiiiiDpT3_
		.amdhsa_group_segment_fixed_size 0
		.amdhsa_private_segment_fixed_size 0
		.amdhsa_kernarg_size 432
		.amdhsa_user_sgpr_count 13
		.amdhsa_user_sgpr_dispatch_ptr 0
		.amdhsa_user_sgpr_queue_ptr 0
		.amdhsa_user_sgpr_kernarg_segment_ptr 1
		.amdhsa_user_sgpr_dispatch_id 0
		.amdhsa_user_sgpr_private_segment_size 0
		.amdhsa_wavefront_size32 1
		.amdhsa_uses_dynamic_stack 0
		.amdhsa_enable_private_segment 0
		.amdhsa_system_sgpr_workgroup_id_x 1
		.amdhsa_system_sgpr_workgroup_id_y 1
		.amdhsa_system_sgpr_workgroup_id_z 1
		.amdhsa_system_sgpr_workgroup_info 0
		.amdhsa_system_vgpr_workitem_id 2
		.amdhsa_next_free_vgpr 17
		.amdhsa_next_free_sgpr 36
		.amdhsa_reserve_vcc 1
		.amdhsa_float_round_mode_32 0
		.amdhsa_float_round_mode_16_64 0
		.amdhsa_float_denorm_mode_32 3
		.amdhsa_float_denorm_mode_16_64 3
		.amdhsa_dx10_clamp 1
		.amdhsa_ieee_mode 1
		.amdhsa_fp16_overflow 0
		.amdhsa_workgroup_processor_mode 1
		.amdhsa_memory_ordered 1
		.amdhsa_forward_progress 0
		.amdhsa_shared_vgpr_count 0
		.amdhsa_exception_fp_ieee_invalid_op 0
		.amdhsa_exception_fp_denorm_src 0
		.amdhsa_exception_fp_ieee_div_zero 0
		.amdhsa_exception_fp_ieee_overflow 0
		.amdhsa_exception_fp_ieee_underflow 0
		.amdhsa_exception_fp_ieee_inexact 0
		.amdhsa_exception_int_div_zero 0
	.end_amdhsa_kernel
	.section	.text._ZL11k_bin_bcastIXadL_ZL6op_addffEE6__halfffJPKfS2_S2_S2_EEvPKT0_PKT1_PT2_iii15HIP_vector_typeIjLj3EESC_SC_SC_SC_iiiiiiiiiiiDpT3_,"axG",@progbits,_ZL11k_bin_bcastIXadL_ZL6op_addffEE6__halfffJPKfS2_S2_S2_EEvPKT0_PKT1_PT2_iii15HIP_vector_typeIjLj3EESC_SC_SC_SC_iiiiiiiiiiiDpT3_,comdat
.Lfunc_end63:
	.size	_ZL11k_bin_bcastIXadL_ZL6op_addffEE6__halfffJPKfS2_S2_S2_EEvPKT0_PKT1_PT2_iii15HIP_vector_typeIjLj3EESC_SC_SC_SC_iiiiiiiiiiiDpT3_, .Lfunc_end63-_ZL11k_bin_bcastIXadL_ZL6op_addffEE6__halfffJPKfS2_S2_S2_EEvPKT0_PKT1_PT2_iii15HIP_vector_typeIjLj3EESC_SC_SC_SC_iiiiiiiiiiiDpT3_
                                        ; -- End function
	.section	.AMDGPU.csdata,"",@progbits
; Kernel info:
; codeLenInByte = 980
; NumSgprs: 38
; NumVgprs: 17
; ScratchSize: 0
; MemoryBound: 0
; FloatMode: 240
; IeeeMode: 1
; LDSByteSize: 0 bytes/workgroup (compile time only)
; SGPRBlocks: 4
; VGPRBlocks: 2
; NumSGPRsForWavesPerEU: 38
; NumVGPRsForWavesPerEU: 17
; Occupancy: 16
; WaveLimiterHint : 1
; COMPUTE_PGM_RSRC2:SCRATCH_EN: 0
; COMPUTE_PGM_RSRC2:USER_SGPR: 13
; COMPUTE_PGM_RSRC2:TRAP_HANDLER: 0
; COMPUTE_PGM_RSRC2:TGID_X_EN: 1
; COMPUTE_PGM_RSRC2:TGID_Y_EN: 1
; COMPUTE_PGM_RSRC2:TGID_Z_EN: 1
; COMPUTE_PGM_RSRC2:TIDIG_COMP_CNT: 2
	.section	.text._ZL19k_bin_bcast_unravelIXadL_ZL6op_addffEEfffJPKfS1_S1_S1_S1_EEvPKT0_PKT1_PT2_15HIP_vector_typeIjLj3EESB_SB_jSB_SB_SB_SB_SB_SB_iiiiiiiiiiiDpT3_,"axG",@progbits,_ZL19k_bin_bcast_unravelIXadL_ZL6op_addffEEfffJPKfS1_S1_S1_S1_EEvPKT0_PKT1_PT2_15HIP_vector_typeIjLj3EESB_SB_jSB_SB_SB_SB_SB_SB_iiiiiiiiiiiDpT3_,comdat
	.globl	_ZL19k_bin_bcast_unravelIXadL_ZL6op_addffEEfffJPKfS1_S1_S1_S1_EEvPKT0_PKT1_PT2_15HIP_vector_typeIjLj3EESB_SB_jSB_SB_SB_SB_SB_SB_iiiiiiiiiiiDpT3_ ; -- Begin function _ZL19k_bin_bcast_unravelIXadL_ZL6op_addffEEfffJPKfS1_S1_S1_S1_EEvPKT0_PKT1_PT2_15HIP_vector_typeIjLj3EESB_SB_jSB_SB_SB_SB_SB_SB_iiiiiiiiiiiDpT3_
	.p2align	8
	.type	_ZL19k_bin_bcast_unravelIXadL_ZL6op_addffEEfffJPKfS1_S1_S1_S1_EEvPKT0_PKT1_PT2_15HIP_vector_typeIjLj3EESB_SB_jSB_SB_SB_SB_SB_SB_iiiiiiiiiiiDpT3_,@function
_ZL19k_bin_bcast_unravelIXadL_ZL6op_addffEEfffJPKfS1_S1_S1_S1_EEvPKT0_PKT1_PT2_15HIP_vector_typeIjLj3EESB_SB_jSB_SB_SB_SB_SB_SB_iiiiiiiiiiiDpT3_: ; @_ZL19k_bin_bcast_unravelIXadL_ZL6op_addffEEfffJPKfS1_S1_S1_S1_EEvPKT0_PKT1_PT2_15HIP_vector_typeIjLj3EESB_SB_jSB_SB_SB_SB_SB_SB_iiiiiiiiiiiDpT3_
; %bb.0:
	s_clause 0x1
	s_load_b32 s2, s[0:1], 0xec
	s_load_b256 s[4:11], s[0:1], 0x38
	s_waitcnt lgkmcnt(0)
	s_and_b32 s2, s2, 0xffff
	s_delay_alu instid0(SALU_CYCLE_1) | instskip(SKIP_3) | instid1(VALU_DEP_1)
	v_mad_u64_u32 v[2:3], null, s15, s2, v[0:1]
	s_clause 0x1
	s_load_b128 s[12:15], s[0:1], 0x18
	s_load_b32 s2, s[0:1], 0x2c
	v_mul_hi_u32 v0, v2, s6
	s_delay_alu instid0(VALU_DEP_1) | instskip(NEXT) | instid1(VALU_DEP_1)
	v_add_nc_u32_e32 v0, v2, v0
	v_lshrrev_b32_e32 v1, s7, v0
	s_delay_alu instid0(VALU_DEP_1) | instskip(NEXT) | instid1(VALU_DEP_1)
	v_mul_lo_u32 v0, v1, s8
	v_sub_nc_u32_e32 v0, v2, v0
	s_delay_alu instid0(VALU_DEP_1) | instskip(NEXT) | instid1(VALU_DEP_1)
	v_mul_hi_u32 v2, v0, s9
	v_add_nc_u32_e32 v2, v0, v2
	s_delay_alu instid0(VALU_DEP_1) | instskip(NEXT) | instid1(VALU_DEP_1)
	v_lshrrev_b32_e32 v2, s10, v2
	v_mul_lo_u32 v3, v2, s11
	v_cmp_gt_u32_e64 s3, s4, v2
	v_cmp_gt_u32_e64 s4, s5, v1
	s_delay_alu instid0(VALU_DEP_3) | instskip(SKIP_1) | instid1(VALU_DEP_1)
	v_sub_nc_u32_e32 v0, v0, v3
	s_waitcnt lgkmcnt(0)
	v_mul_hi_u32 v3, v0, s12
	s_delay_alu instid0(VALU_DEP_1) | instskip(NEXT) | instid1(VALU_DEP_1)
	v_add_nc_u32_e32 v3, v0, v3
	v_lshrrev_b32_e32 v3, s13, v3
	s_delay_alu instid0(VALU_DEP_1) | instskip(SKIP_1) | instid1(VALU_DEP_2)
	v_mul_lo_u32 v4, v3, s14
	v_cmp_gt_u32_e64 s2, s2, v3
	v_sub_nc_u32_e32 v0, v0, v4
	s_delay_alu instid0(VALU_DEP_1) | instskip(NEXT) | instid1(VALU_DEP_3)
	v_cmp_gt_u32_e32 vcc_lo, s14, v0
	s_and_b32 s2, vcc_lo, s2
	s_delay_alu instid0(SALU_CYCLE_1) | instskip(NEXT) | instid1(SALU_CYCLE_1)
	s_and_b32 s2, s2, s3
	s_and_b32 s2, s4, s2
	s_delay_alu instid0(SALU_CYCLE_1)
	s_and_saveexec_b32 s3, s2
	s_cbranch_execz .LBB64_5
; %bb.1:
	s_clause 0x4
	s_load_b64 s[2:3], s[0:1], 0x0
	s_load_b128 s[20:23], s[0:1], 0xa8
	s_load_b256 s[4:11], s[0:1], 0x88
	s_load_b128 s[24:27], s[0:1], 0x78
	s_load_b256 s[12:19], s[0:1], 0x58
	s_waitcnt lgkmcnt(0)
	s_cmp_eq_u64 s[2:3], 0
	s_cbranch_scc1 .LBB64_3
; %bb.2:
	v_mul_lo_u32 v4, v1, s10
	v_mul_lo_u32 v6, v2, s9
	;; [unrolled: 1-line block ×3, first 2 shown]
	v_mov_b32_e32 v5, 0
	s_delay_alu instid0(VALU_DEP_2) | instskip(NEXT) | instid1(VALU_DEP_1)
	v_add3_u32 v4, v6, v4, v7
	v_lshlrev_b64 v[6:7], 2, v[4:5]
	v_mul_lo_u32 v4, v0, s7
	s_delay_alu instid0(VALU_DEP_2) | instskip(NEXT) | instid1(VALU_DEP_3)
	v_add_co_u32 v6, vcc_lo, s2, v6
	v_add_co_ci_u32_e32 v7, vcc_lo, s3, v7, vcc_lo
	s_delay_alu instid0(VALU_DEP_3) | instskip(NEXT) | instid1(VALU_DEP_1)
	v_lshlrev_b64 v[4:5], 2, v[4:5]
	v_add_co_u32 v4, vcc_lo, v6, v4
	s_delay_alu instid0(VALU_DEP_2)
	v_add_co_ci_u32_e32 v5, vcc_lo, v7, v5, vcc_lo
	global_load_b32 v4, v[4:5], off
	s_branch .LBB64_4
.LBB64_3:
	v_mov_b32_e32 v4, 0
.LBB64_4:
	v_mul_hi_u32 v5, s25, v1
	v_mul_hi_u32 v6, s18, v2
	;; [unrolled: 1-line block ×4, first 2 shown]
	s_load_b64 s[2:3], s[0:1], 0xd8
	s_delay_alu instid0(VALU_DEP_4) | instskip(NEXT) | instid1(VALU_DEP_4)
	v_add_nc_u32_e32 v5, v1, v5
	v_add_nc_u32_e32 v6, v2, v6
	s_delay_alu instid0(VALU_DEP_4) | instskip(NEXT) | instid1(VALU_DEP_4)
	v_add_nc_u32_e32 v7, v3, v7
	v_add_nc_u32_e32 v8, v0, v8
	s_delay_alu instid0(VALU_DEP_4) | instskip(NEXT) | instid1(VALU_DEP_4)
	v_lshrrev_b32_e32 v5, s26, v5
	v_lshrrev_b32_e32 v6, s19, v6
	s_delay_alu instid0(VALU_DEP_4) | instskip(NEXT) | instid1(VALU_DEP_4)
	v_lshrrev_b32_e32 v7, s16, v7
	v_lshrrev_b32_e32 v8, s13, v8
	s_delay_alu instid0(VALU_DEP_4) | instskip(NEXT) | instid1(VALU_DEP_4)
	v_mul_lo_u32 v5, v5, s27
	v_mul_lo_u32 v6, v6, s24
	s_delay_alu instid0(VALU_DEP_4) | instskip(NEXT) | instid1(VALU_DEP_4)
	v_mul_lo_u32 v7, v7, s17
	v_mul_lo_u32 v8, v8, s14
	s_delay_alu instid0(VALU_DEP_4) | instskip(NEXT) | instid1(VALU_DEP_4)
	v_sub_nc_u32_e32 v5, v1, v5
	v_sub_nc_u32_e32 v6, v2, v6
	s_delay_alu instid0(VALU_DEP_4) | instskip(NEXT) | instid1(VALU_DEP_4)
	v_sub_nc_u32_e32 v7, v3, v7
	v_sub_nc_u32_e32 v8, v0, v8
	v_mul_lo_u32 v1, v1, s6
	v_mul_lo_u32 v5, v5, s22
	;; [unrolled: 1-line block ×5, first 2 shown]
	s_clause 0x1
	s_load_b256 s[8:15], s[0:1], 0xb8
	s_load_b64 s[0:1], s[0:1], 0x10
	v_mul_lo_u32 v2, v2, s5
	s_delay_alu instid0(VALU_DEP_3) | instskip(NEXT) | instid1(VALU_DEP_3)
	v_add3_u32 v5, v6, v5, v7
	v_ashrrev_i32_e32 v6, 31, v8
	s_delay_alu instid0(VALU_DEP_2) | instskip(SKIP_1) | instid1(VALU_DEP_2)
	v_ashrrev_i32_e32 v7, 31, v5
	v_add_co_u32 v5, vcc_lo, v8, v5
	v_add_co_ci_u32_e32 v6, vcc_lo, v6, v7, vcc_lo
	s_delay_alu instid0(VALU_DEP_1) | instskip(SKIP_1) | instid1(VALU_DEP_1)
	v_lshlrev_b64 v[5:6], 2, v[5:6]
	s_waitcnt lgkmcnt(0)
	v_add_co_u32 v7, vcc_lo, s8, v5
	s_delay_alu instid0(VALU_DEP_2)
	v_add_co_ci_u32_e32 v8, vcc_lo, s9, v6, vcc_lo
	v_add_co_u32 v9, vcc_lo, s10, v5
	v_add_co_ci_u32_e32 v10, vcc_lo, s11, v6, vcc_lo
	global_load_b32 v11, v[7:8], off
	v_add_co_u32 v7, vcc_lo, s12, v5
	v_add_co_ci_u32_e32 v8, vcc_lo, s13, v6, vcc_lo
	global_load_b32 v12, v[9:10], off
	;; [unrolled: 3-line block ×4, first 2 shown]
	global_load_b32 v5, v[5:6], off
	v_mul_lo_u32 v6, v3, s4
	v_mov_b32_e32 v3, 0
	s_delay_alu instid0(VALU_DEP_2) | instskip(NEXT) | instid1(VALU_DEP_2)
	v_add3_u32 v2, v2, v1, v6
	v_mov_b32_e32 v1, v3
	s_delay_alu instid0(VALU_DEP_2) | instskip(NEXT) | instid1(VALU_DEP_2)
	v_lshlrev_b64 v[2:3], 2, v[2:3]
	v_lshlrev_b64 v[0:1], 2, v[0:1]
	s_delay_alu instid0(VALU_DEP_2) | instskip(NEXT) | instid1(VALU_DEP_3)
	v_add_co_u32 v2, vcc_lo, s0, v2
	v_add_co_ci_u32_e32 v3, vcc_lo, s1, v3, vcc_lo
	s_delay_alu instid0(VALU_DEP_2) | instskip(NEXT) | instid1(VALU_DEP_2)
	v_add_co_u32 v0, vcc_lo, v2, v0
	v_add_co_ci_u32_e32 v1, vcc_lo, v3, v1, vcc_lo
	s_waitcnt vmcnt(4)
	v_add_f32_e32 v4, v4, v11
	s_waitcnt vmcnt(3)
	s_delay_alu instid0(VALU_DEP_1) | instskip(SKIP_1) | instid1(VALU_DEP_1)
	v_add_f32_e32 v4, v4, v12
	s_waitcnt vmcnt(2)
	v_add_f32_e32 v4, v4, v7
	s_waitcnt vmcnt(1)
	s_delay_alu instid0(VALU_DEP_1) | instskip(SKIP_1) | instid1(VALU_DEP_1)
	v_add_f32_e32 v4, v4, v8
	s_waitcnt vmcnt(0)
	v_add_f32_e32 v4, v4, v5
	global_store_b32 v[0:1], v4, off
.LBB64_5:
	s_nop 0
	s_sendmsg sendmsg(MSG_DEALLOC_VGPRS)
	s_endpgm
	.section	.rodata,"a",@progbits
	.p2align	6, 0x0
	.amdhsa_kernel _ZL19k_bin_bcast_unravelIXadL_ZL6op_addffEEfffJPKfS1_S1_S1_S1_EEvPKT0_PKT1_PT2_15HIP_vector_typeIjLj3EESB_SB_jSB_SB_SB_SB_SB_SB_iiiiiiiiiiiDpT3_
		.amdhsa_group_segment_fixed_size 0
		.amdhsa_private_segment_fixed_size 0
		.amdhsa_kernarg_size 480
		.amdhsa_user_sgpr_count 15
		.amdhsa_user_sgpr_dispatch_ptr 0
		.amdhsa_user_sgpr_queue_ptr 0
		.amdhsa_user_sgpr_kernarg_segment_ptr 1
		.amdhsa_user_sgpr_dispatch_id 0
		.amdhsa_user_sgpr_private_segment_size 0
		.amdhsa_wavefront_size32 1
		.amdhsa_uses_dynamic_stack 0
		.amdhsa_enable_private_segment 0
		.amdhsa_system_sgpr_workgroup_id_x 1
		.amdhsa_system_sgpr_workgroup_id_y 0
		.amdhsa_system_sgpr_workgroup_id_z 0
		.amdhsa_system_sgpr_workgroup_info 0
		.amdhsa_system_vgpr_workitem_id 0
		.amdhsa_next_free_vgpr 13
		.amdhsa_next_free_sgpr 28
		.amdhsa_reserve_vcc 1
		.amdhsa_float_round_mode_32 0
		.amdhsa_float_round_mode_16_64 0
		.amdhsa_float_denorm_mode_32 3
		.amdhsa_float_denorm_mode_16_64 3
		.amdhsa_dx10_clamp 1
		.amdhsa_ieee_mode 1
		.amdhsa_fp16_overflow 0
		.amdhsa_workgroup_processor_mode 1
		.amdhsa_memory_ordered 1
		.amdhsa_forward_progress 0
		.amdhsa_shared_vgpr_count 0
		.amdhsa_exception_fp_ieee_invalid_op 0
		.amdhsa_exception_fp_denorm_src 0
		.amdhsa_exception_fp_ieee_div_zero 0
		.amdhsa_exception_fp_ieee_overflow 0
		.amdhsa_exception_fp_ieee_underflow 0
		.amdhsa_exception_fp_ieee_inexact 0
		.amdhsa_exception_int_div_zero 0
	.end_amdhsa_kernel
	.section	.text._ZL19k_bin_bcast_unravelIXadL_ZL6op_addffEEfffJPKfS1_S1_S1_S1_EEvPKT0_PKT1_PT2_15HIP_vector_typeIjLj3EESB_SB_jSB_SB_SB_SB_SB_SB_iiiiiiiiiiiDpT3_,"axG",@progbits,_ZL19k_bin_bcast_unravelIXadL_ZL6op_addffEEfffJPKfS1_S1_S1_S1_EEvPKT0_PKT1_PT2_15HIP_vector_typeIjLj3EESB_SB_jSB_SB_SB_SB_SB_SB_iiiiiiiiiiiDpT3_,comdat
.Lfunc_end64:
	.size	_ZL19k_bin_bcast_unravelIXadL_ZL6op_addffEEfffJPKfS1_S1_S1_S1_EEvPKT0_PKT1_PT2_15HIP_vector_typeIjLj3EESB_SB_jSB_SB_SB_SB_SB_SB_iiiiiiiiiiiDpT3_, .Lfunc_end64-_ZL19k_bin_bcast_unravelIXadL_ZL6op_addffEEfffJPKfS1_S1_S1_S1_EEvPKT0_PKT1_PT2_15HIP_vector_typeIjLj3EESB_SB_jSB_SB_SB_SB_SB_SB_iiiiiiiiiiiDpT3_
                                        ; -- End function
	.section	.AMDGPU.csdata,"",@progbits
; Kernel info:
; codeLenInByte = 936
; NumSgprs: 30
; NumVgprs: 13
; ScratchSize: 0
; MemoryBound: 0
; FloatMode: 240
; IeeeMode: 1
; LDSByteSize: 0 bytes/workgroup (compile time only)
; SGPRBlocks: 3
; VGPRBlocks: 1
; NumSGPRsForWavesPerEU: 30
; NumVGPRsForWavesPerEU: 13
; Occupancy: 16
; WaveLimiterHint : 1
; COMPUTE_PGM_RSRC2:SCRATCH_EN: 0
; COMPUTE_PGM_RSRC2:USER_SGPR: 15
; COMPUTE_PGM_RSRC2:TRAP_HANDLER: 0
; COMPUTE_PGM_RSRC2:TGID_X_EN: 1
; COMPUTE_PGM_RSRC2:TGID_Y_EN: 0
; COMPUTE_PGM_RSRC2:TGID_Z_EN: 0
; COMPUTE_PGM_RSRC2:TIDIG_COMP_CNT: 0
	.section	.text._ZL11k_bin_bcastIXadL_ZL6op_addffEEfffJPKfS1_S1_S1_S1_EEvPKT0_PKT1_PT2_iii15HIP_vector_typeIjLj3EESB_SB_SB_SB_iiiiiiiiiiiDpT3_,"axG",@progbits,_ZL11k_bin_bcastIXadL_ZL6op_addffEEfffJPKfS1_S1_S1_S1_EEvPKT0_PKT1_PT2_iii15HIP_vector_typeIjLj3EESB_SB_SB_SB_iiiiiiiiiiiDpT3_,comdat
	.globl	_ZL11k_bin_bcastIXadL_ZL6op_addffEEfffJPKfS1_S1_S1_S1_EEvPKT0_PKT1_PT2_iii15HIP_vector_typeIjLj3EESB_SB_SB_SB_iiiiiiiiiiiDpT3_ ; -- Begin function _ZL11k_bin_bcastIXadL_ZL6op_addffEEfffJPKfS1_S1_S1_S1_EEvPKT0_PKT1_PT2_iii15HIP_vector_typeIjLj3EESB_SB_SB_SB_iiiiiiiiiiiDpT3_
	.p2align	8
	.type	_ZL11k_bin_bcastIXadL_ZL6op_addffEEfffJPKfS1_S1_S1_S1_EEvPKT0_PKT1_PT2_iii15HIP_vector_typeIjLj3EESB_SB_SB_SB_iiiiiiiiiiiDpT3_,@function
_ZL11k_bin_bcastIXadL_ZL6op_addffEEfffJPKfS1_S1_S1_S1_EEvPKT0_PKT1_PT2_iii15HIP_vector_typeIjLj3EESB_SB_SB_SB_iiiiiiiiiiiDpT3_: ; @_ZL11k_bin_bcastIXadL_ZL6op_addffEEfffJPKfS1_S1_S1_S1_EEvPKT0_PKT1_PT2_iii15HIP_vector_typeIjLj3EESB_SB_SB_SB_iiiiiiiiiiiDpT3_
; %bb.0:
	s_clause 0x1
	s_load_b64 s[2:3], s[0:1], 0xc4
	s_load_b256 s[16:23], s[0:1], 0x18
	v_bfe_u32 v1, v0, 20, 10
	s_add_u32 s34, s0, 0xb8
	s_addc_u32 s35, s1, 0
	s_waitcnt lgkmcnt(0)
	s_and_b32 s3, s3, 0xffff
	s_delay_alu instid0(SALU_CYCLE_1) | instskip(SKIP_3) | instid1(VALU_DEP_3)
	v_mad_u64_u32 v[4:5], null, s15, s3, v[1:2]
	v_and_b32_e32 v2, 0x3ff, v0
	v_bfe_u32 v5, v0, 10, 10
	s_lshr_b32 s3, s2, 16
	v_mul_hi_u32 v1, v4, s19
	s_delay_alu instid0(VALU_DEP_1) | instskip(NEXT) | instid1(VALU_DEP_1)
	v_add_nc_u32_e32 v1, v4, v1
	v_lshrrev_b32_e32 v3, s20, v1
	s_and_b32 s20, s2, 0xffff
	s_delay_alu instid0(VALU_DEP_1) | instskip(SKIP_1) | instid1(VALU_DEP_2)
	v_mul_lo_u32 v6, v3, s21
	v_mad_u64_u32 v[0:1], null, s13, s20, v[2:3]
	v_mad_u64_u32 v[1:2], null, s14, s3, v[5:6]
	v_sub_nc_u32_e32 v4, v4, v6
	s_delay_alu instid0(VALU_DEP_3) | instskip(SKIP_1) | instid1(VALU_DEP_3)
	v_cmp_gt_u32_e32 vcc_lo, s16, v0
	v_cmp_gt_u32_e64 s3, s18, v3
	v_cmp_gt_u32_e64 s4, s21, v4
	;; [unrolled: 1-line block ×3, first 2 shown]
	s_delay_alu instid0(VALU_DEP_1)
	s_and_b32 s2, vcc_lo, s2
	s_delay_alu instid0(VALU_DEP_3) | instid1(SALU_CYCLE_1)
	s_and_b32 s2, s2, s3
	s_delay_alu instid0(VALU_DEP_2) | instid1(SALU_CYCLE_1)
	s_and_b32 s2, s2, s4
	s_delay_alu instid0(SALU_CYCLE_1)
	s_and_saveexec_b32 s3, s2
	s_cbranch_execz .LBB65_6
; %bb.1:
	v_cmp_gt_i32_e32 vcc_lo, s16, v0
	s_and_b32 exec_lo, exec_lo, vcc_lo
	s_cbranch_execz .LBB65_6
; %bb.2:
	s_clause 0x2
	s_load_b256 s[24:31], s[0:1], 0x3c
	s_load_b256 s[4:11], s[0:1], 0x60
	s_load_b128 s[12:15], s[0:1], 0x80
	s_waitcnt lgkmcnt(0)
	s_load_b32 s15, s[34:35], 0x0
	s_clause 0x4
	s_load_b32 s17, s[0:1], 0x5c
	s_load_b64 s[34:35], s[0:1], 0x0
	s_load_b32 s21, s[0:1], 0x38
	s_load_b64 s[18:19], s[0:1], 0x10
	s_load_b64 s[2:3], s[0:1], 0xb0
	v_mul_hi_u32 v2, s24, v1
	v_mul_hi_u32 v5, s27, v3
	;; [unrolled: 1-line block ×3, first 2 shown]
	v_mul_lo_u32 v9, v4, s10
	v_mul_lo_u32 v10, v3, s9
	;; [unrolled: 1-line block ×3, first 2 shown]
	v_mov_b32_e32 v6, 0
	v_mul_lo_u32 v12, v4, s6
	v_add_nc_u32_e32 v2, v1, v2
	v_add_nc_u32_e32 v5, v3, v5
	s_delay_alu instid0(VALU_DEP_4) | instskip(SKIP_1) | instid1(VALU_DEP_4)
	v_dual_mov_b32 v8, v6 :: v_dual_add_nc_u32 v7, v4, v7
	v_mul_lo_u32 v13, v3, s5
	v_lshrrev_b32_e32 v2, s25, v2
	s_delay_alu instid0(VALU_DEP_4) | instskip(NEXT) | instid1(VALU_DEP_4)
	v_lshrrev_b32_e32 v15, s28, v5
	v_lshrrev_b32_e32 v16, s31, v7
	v_add3_u32 v5, v10, v11, v9
	v_mul_lo_u32 v14, v1, s4
	v_mul_lo_u32 v9, v2, s26
	;; [unrolled: 1-line block ×3, first 2 shown]
	s_waitcnt lgkmcnt(0)
	v_mul_lo_u32 v11, v16, s17
	v_lshlrev_b64 v[5:6], 2, v[5:6]
	s_load_b256 s[24:31], s[0:1], 0x90
	s_cmp_lg_u64 s[34:35], 0
	v_mul_lo_u32 v2, s7, v0
	v_add3_u32 v7, v13, v14, v12
	v_sub_nc_u32_e32 v1, v1, v9
	v_sub_nc_u32_e32 v3, v3, v10
	;; [unrolled: 1-line block ×3, first 2 shown]
	v_add_co_u32 v9, vcc_lo, s34, v5
	v_add_co_ci_u32_e32 v5, vcc_lo, s35, v6, vcc_lo
	v_lshlrev_b64 v[7:8], 2, v[7:8]
	s_delay_alu instid0(VALU_DEP_4)
	v_mul_lo_u32 v10, v4, s14
	v_mul_lo_u32 v3, v3, s13
	;; [unrolled: 1-line block ×3, first 2 shown]
	s_cselect_b32 vcc_lo, -1, 0
	s_mul_i32 s4, s15, s20
	v_cndmask_b32_e32 v5, 0, v5, vcc_lo
	v_cndmask_b32_e32 v4, 0, v9, vcc_lo
	v_add_co_u32 v6, vcc_lo, s18, v7
	v_add_co_ci_u32_e32 v7, vcc_lo, s19, v8, vcc_lo
	s_delay_alu instid0(VALU_DEP_3)
	v_cmp_ne_u64_e32 vcc_lo, 0, v[4:5]
	v_add3_u32 v8, v3, v10, v1
	s_mov_b32 s5, 0
	s_mul_i32 s6, s4, s7
	s_sub_i32 s7, 0, s21
	s_branch .LBB65_4
.LBB65_3:                               ;   in Loop: Header=BB65_4 Depth=1
	s_or_b32 exec_lo, exec_lo, s1
	v_mul_hi_u32 v3, s22, v0
	v_add_nc_u32_e32 v2, s6, v2
	s_delay_alu instid0(VALU_DEP_2) | instskip(NEXT) | instid1(VALU_DEP_1)
	v_add_nc_u32_e32 v3, v0, v3
	v_lshrrev_b32_e32 v3, s23, v3
	s_waitcnt vmcnt(0)
	s_delay_alu instid0(VALU_DEP_1) | instskip(NEXT) | instid1(VALU_DEP_1)
	v_mad_u64_u32 v[9:10], null, s7, v3, v[0:1]
	v_mul_lo_u32 v3, v9, s11
	s_delay_alu instid0(VALU_DEP_1) | instskip(NEXT) | instid1(VALU_DEP_1)
	v_add_co_u32 v9, s0, v3, v8
	v_add_co_ci_u32_e64 v10, null, 0, 0, s0
	s_delay_alu instid0(VALU_DEP_1) | instskip(SKIP_1) | instid1(VALU_DEP_1)
	v_lshlrev_b64 v[9:10], 2, v[9:10]
	s_waitcnt lgkmcnt(0)
	v_add_co_u32 v11, s0, s24, v9
	s_delay_alu instid0(VALU_DEP_1) | instskip(SKIP_1) | instid1(VALU_DEP_1)
	v_add_co_ci_u32_e64 v12, s0, s25, v10, s0
	v_add_co_u32 v13, s0, s26, v9
	v_add_co_ci_u32_e64 v14, s0, s27, v10, s0
	global_load_b32 v3, v[11:12], off
	v_add_co_u32 v11, s0, s28, v9
	s_delay_alu instid0(VALU_DEP_1) | instskip(SKIP_2) | instid1(VALU_DEP_1)
	v_add_co_ci_u32_e64 v12, s0, s29, v10, s0
	global_load_b32 v15, v[13:14], off
	v_add_co_u32 v13, s0, s30, v9
	v_add_co_ci_u32_e64 v14, s0, s31, v10, s0
	global_load_b32 v11, v[11:12], off
	v_add_co_u32 v9, s0, s2, v9
	s_delay_alu instid0(VALU_DEP_1)
	v_add_co_ci_u32_e64 v10, s0, s3, v10, s0
	global_load_b32 v12, v[13:14], off
	global_load_b32 v13, v[9:10], off
	s_waitcnt vmcnt(4)
	v_add_f32_e32 v1, v1, v3
	s_waitcnt vmcnt(3)
	s_delay_alu instid0(VALU_DEP_1) | instskip(SKIP_2) | instid1(VALU_DEP_2)
	v_add_f32_e32 v3, v1, v15
	v_ashrrev_i32_e32 v1, 31, v0
	s_waitcnt vmcnt(2)
	v_add_f32_e32 v3, v3, v11
	s_delay_alu instid0(VALU_DEP_2) | instskip(SKIP_2) | instid1(VALU_DEP_3)
	v_lshlrev_b64 v[9:10], 2, v[0:1]
	v_add_nc_u32_e32 v0, s4, v0
	s_waitcnt vmcnt(1)
	v_add_f32_e32 v1, v3, v12
	s_delay_alu instid0(VALU_DEP_2) | instskip(NEXT) | instid1(VALU_DEP_4)
	v_cmp_le_i32_e64 s0, s16, v0
	v_add_co_u32 v9, s1, v6, v9
	s_delay_alu instid0(VALU_DEP_1)
	v_add_co_ci_u32_e64 v10, s1, v7, v10, s1
	s_waitcnt vmcnt(0)
	v_add_f32_e32 v1, v1, v13
	s_or_b32 s5, s0, s5
	global_store_b32 v[9:10], v1, off
	s_and_not1_b32 exec_lo, exec_lo, s5
	s_cbranch_execz .LBB65_6
.LBB65_4:                               ; =>This Inner Loop Header: Depth=1
	v_mov_b32_e32 v1, 0
	s_and_saveexec_b32 s1, vcc_lo
	s_cbranch_execz .LBB65_3
; %bb.5:                                ;   in Loop: Header=BB65_4 Depth=1
	v_ashrrev_i32_e32 v3, 31, v2
	s_delay_alu instid0(VALU_DEP_1) | instskip(NEXT) | instid1(VALU_DEP_1)
	v_lshlrev_b64 v[9:10], 2, v[2:3]
	v_add_co_u32 v9, s0, v4, v9
	s_delay_alu instid0(VALU_DEP_1)
	v_add_co_ci_u32_e64 v10, s0, v5, v10, s0
	global_load_b32 v1, v[9:10], off
	s_branch .LBB65_3
.LBB65_6:
	s_nop 0
	s_sendmsg sendmsg(MSG_DEALLOC_VGPRS)
	s_endpgm
	.section	.rodata,"a",@progbits
	.p2align	6, 0x0
	.amdhsa_kernel _ZL11k_bin_bcastIXadL_ZL6op_addffEEfffJPKfS1_S1_S1_S1_EEvPKT0_PKT1_PT2_iii15HIP_vector_typeIjLj3EESB_SB_SB_SB_iiiiiiiiiiiDpT3_
		.amdhsa_group_segment_fixed_size 0
		.amdhsa_private_segment_fixed_size 0
		.amdhsa_kernarg_size 440
		.amdhsa_user_sgpr_count 13
		.amdhsa_user_sgpr_dispatch_ptr 0
		.amdhsa_user_sgpr_queue_ptr 0
		.amdhsa_user_sgpr_kernarg_segment_ptr 1
		.amdhsa_user_sgpr_dispatch_id 0
		.amdhsa_user_sgpr_private_segment_size 0
		.amdhsa_wavefront_size32 1
		.amdhsa_uses_dynamic_stack 0
		.amdhsa_enable_private_segment 0
		.amdhsa_system_sgpr_workgroup_id_x 1
		.amdhsa_system_sgpr_workgroup_id_y 1
		.amdhsa_system_sgpr_workgroup_id_z 1
		.amdhsa_system_sgpr_workgroup_info 0
		.amdhsa_system_vgpr_workitem_id 2
		.amdhsa_next_free_vgpr 17
		.amdhsa_next_free_sgpr 36
		.amdhsa_reserve_vcc 1
		.amdhsa_float_round_mode_32 0
		.amdhsa_float_round_mode_16_64 0
		.amdhsa_float_denorm_mode_32 3
		.amdhsa_float_denorm_mode_16_64 3
		.amdhsa_dx10_clamp 1
		.amdhsa_ieee_mode 1
		.amdhsa_fp16_overflow 0
		.amdhsa_workgroup_processor_mode 1
		.amdhsa_memory_ordered 1
		.amdhsa_forward_progress 0
		.amdhsa_shared_vgpr_count 0
		.amdhsa_exception_fp_ieee_invalid_op 0
		.amdhsa_exception_fp_denorm_src 0
		.amdhsa_exception_fp_ieee_div_zero 0
		.amdhsa_exception_fp_ieee_overflow 0
		.amdhsa_exception_fp_ieee_underflow 0
		.amdhsa_exception_fp_ieee_inexact 0
		.amdhsa_exception_int_div_zero 0
	.end_amdhsa_kernel
	.section	.text._ZL11k_bin_bcastIXadL_ZL6op_addffEEfffJPKfS1_S1_S1_S1_EEvPKT0_PKT1_PT2_iii15HIP_vector_typeIjLj3EESB_SB_SB_SB_iiiiiiiiiiiDpT3_,"axG",@progbits,_ZL11k_bin_bcastIXadL_ZL6op_addffEEfffJPKfS1_S1_S1_S1_EEvPKT0_PKT1_PT2_iii15HIP_vector_typeIjLj3EESB_SB_SB_SB_iiiiiiiiiiiDpT3_,comdat
.Lfunc_end65:
	.size	_ZL11k_bin_bcastIXadL_ZL6op_addffEEfffJPKfS1_S1_S1_S1_EEvPKT0_PKT1_PT2_iii15HIP_vector_typeIjLj3EESB_SB_SB_SB_iiiiiiiiiiiDpT3_, .Lfunc_end65-_ZL11k_bin_bcastIXadL_ZL6op_addffEEfffJPKfS1_S1_S1_S1_EEvPKT0_PKT1_PT2_iii15HIP_vector_typeIjLj3EESB_SB_SB_SB_iiiiiiiiiiiDpT3_
                                        ; -- End function
	.section	.AMDGPU.csdata,"",@progbits
; Kernel info:
; codeLenInByte = 1020
; NumSgprs: 38
; NumVgprs: 17
; ScratchSize: 0
; MemoryBound: 0
; FloatMode: 240
; IeeeMode: 1
; LDSByteSize: 0 bytes/workgroup (compile time only)
; SGPRBlocks: 4
; VGPRBlocks: 2
; NumSGPRsForWavesPerEU: 38
; NumVGPRsForWavesPerEU: 17
; Occupancy: 16
; WaveLimiterHint : 1
; COMPUTE_PGM_RSRC2:SCRATCH_EN: 0
; COMPUTE_PGM_RSRC2:USER_SGPR: 13
; COMPUTE_PGM_RSRC2:TRAP_HANDLER: 0
; COMPUTE_PGM_RSRC2:TGID_X_EN: 1
; COMPUTE_PGM_RSRC2:TGID_Y_EN: 1
; COMPUTE_PGM_RSRC2:TGID_Z_EN: 1
; COMPUTE_PGM_RSRC2:TIDIG_COMP_CNT: 2
	.section	.text._ZL19k_bin_bcast_unravelIXadL_ZL6op_addffEE6__halfS0_S0_JPKS0_S2_S2_S2_S2_EEvPKT0_PKT1_PT2_15HIP_vector_typeIjLj3EESC_SC_jSC_SC_SC_SC_SC_SC_iiiiiiiiiiiDpT3_,"axG",@progbits,_ZL19k_bin_bcast_unravelIXadL_ZL6op_addffEE6__halfS0_S0_JPKS0_S2_S2_S2_S2_EEvPKT0_PKT1_PT2_15HIP_vector_typeIjLj3EESC_SC_jSC_SC_SC_SC_SC_SC_iiiiiiiiiiiDpT3_,comdat
	.globl	_ZL19k_bin_bcast_unravelIXadL_ZL6op_addffEE6__halfS0_S0_JPKS0_S2_S2_S2_S2_EEvPKT0_PKT1_PT2_15HIP_vector_typeIjLj3EESC_SC_jSC_SC_SC_SC_SC_SC_iiiiiiiiiiiDpT3_ ; -- Begin function _ZL19k_bin_bcast_unravelIXadL_ZL6op_addffEE6__halfS0_S0_JPKS0_S2_S2_S2_S2_EEvPKT0_PKT1_PT2_15HIP_vector_typeIjLj3EESC_SC_jSC_SC_SC_SC_SC_SC_iiiiiiiiiiiDpT3_
	.p2align	8
	.type	_ZL19k_bin_bcast_unravelIXadL_ZL6op_addffEE6__halfS0_S0_JPKS0_S2_S2_S2_S2_EEvPKT0_PKT1_PT2_15HIP_vector_typeIjLj3EESC_SC_jSC_SC_SC_SC_SC_SC_iiiiiiiiiiiDpT3_,@function
_ZL19k_bin_bcast_unravelIXadL_ZL6op_addffEE6__halfS0_S0_JPKS0_S2_S2_S2_S2_EEvPKT0_PKT1_PT2_15HIP_vector_typeIjLj3EESC_SC_jSC_SC_SC_SC_SC_SC_iiiiiiiiiiiDpT3_: ; @_ZL19k_bin_bcast_unravelIXadL_ZL6op_addffEE6__halfS0_S0_JPKS0_S2_S2_S2_S2_EEvPKT0_PKT1_PT2_15HIP_vector_typeIjLj3EESC_SC_jSC_SC_SC_SC_SC_SC_iiiiiiiiiiiDpT3_
; %bb.0:
	s_clause 0x1
	s_load_b32 s2, s[0:1], 0xec
	s_load_b256 s[4:11], s[0:1], 0x38
	s_waitcnt lgkmcnt(0)
	s_and_b32 s2, s2, 0xffff
	s_delay_alu instid0(SALU_CYCLE_1) | instskip(SKIP_3) | instid1(VALU_DEP_1)
	v_mad_u64_u32 v[2:3], null, s15, s2, v[0:1]
	s_clause 0x1
	s_load_b128 s[12:15], s[0:1], 0x18
	s_load_b32 s2, s[0:1], 0x2c
	v_mul_hi_u32 v0, v2, s6
	s_delay_alu instid0(VALU_DEP_1) | instskip(NEXT) | instid1(VALU_DEP_1)
	v_add_nc_u32_e32 v0, v2, v0
	v_lshrrev_b32_e32 v1, s7, v0
	s_delay_alu instid0(VALU_DEP_1) | instskip(NEXT) | instid1(VALU_DEP_1)
	v_mul_lo_u32 v0, v1, s8
	v_sub_nc_u32_e32 v0, v2, v0
	s_delay_alu instid0(VALU_DEP_1) | instskip(NEXT) | instid1(VALU_DEP_1)
	v_mul_hi_u32 v2, v0, s9
	v_add_nc_u32_e32 v2, v0, v2
	s_delay_alu instid0(VALU_DEP_1) | instskip(NEXT) | instid1(VALU_DEP_1)
	v_lshrrev_b32_e32 v2, s10, v2
	v_mul_lo_u32 v3, v2, s11
	v_cmp_gt_u32_e64 s3, s4, v2
	v_cmp_gt_u32_e64 s4, s5, v1
	s_delay_alu instid0(VALU_DEP_3) | instskip(SKIP_1) | instid1(VALU_DEP_1)
	v_sub_nc_u32_e32 v0, v0, v3
	s_waitcnt lgkmcnt(0)
	v_mul_hi_u32 v3, v0, s12
	s_delay_alu instid0(VALU_DEP_1) | instskip(NEXT) | instid1(VALU_DEP_1)
	v_add_nc_u32_e32 v3, v0, v3
	v_lshrrev_b32_e32 v3, s13, v3
	s_delay_alu instid0(VALU_DEP_1) | instskip(SKIP_1) | instid1(VALU_DEP_2)
	v_mul_lo_u32 v4, v3, s14
	v_cmp_gt_u32_e64 s2, s2, v3
	v_sub_nc_u32_e32 v0, v0, v4
	s_delay_alu instid0(VALU_DEP_1) | instskip(NEXT) | instid1(VALU_DEP_3)
	v_cmp_gt_u32_e32 vcc_lo, s14, v0
	s_and_b32 s2, vcc_lo, s2
	s_delay_alu instid0(SALU_CYCLE_1) | instskip(NEXT) | instid1(SALU_CYCLE_1)
	s_and_b32 s2, s2, s3
	s_and_b32 s2, s4, s2
	s_delay_alu instid0(SALU_CYCLE_1)
	s_and_saveexec_b32 s3, s2
	s_cbranch_execz .LBB66_5
; %bb.1:
	s_clause 0x4
	s_load_b64 s[2:3], s[0:1], 0x0
	s_load_b128 s[20:23], s[0:1], 0xa8
	s_load_b256 s[4:11], s[0:1], 0x88
	s_load_b128 s[24:27], s[0:1], 0x78
	s_load_b256 s[12:19], s[0:1], 0x58
	s_waitcnt lgkmcnt(0)
	s_cmp_eq_u64 s[2:3], 0
	s_cbranch_scc1 .LBB66_3
; %bb.2:
	v_mul_lo_u32 v4, v1, s10
	v_mul_lo_u32 v6, v2, s9
	;; [unrolled: 1-line block ×3, first 2 shown]
	v_mov_b32_e32 v5, 0
	s_delay_alu instid0(VALU_DEP_2) | instskip(NEXT) | instid1(VALU_DEP_1)
	v_add3_u32 v4, v6, v4, v7
	v_lshlrev_b64 v[6:7], 1, v[4:5]
	v_mul_lo_u32 v4, v0, s7
	s_delay_alu instid0(VALU_DEP_2) | instskip(NEXT) | instid1(VALU_DEP_3)
	v_add_co_u32 v6, vcc_lo, s2, v6
	v_add_co_ci_u32_e32 v7, vcc_lo, s3, v7, vcc_lo
	s_delay_alu instid0(VALU_DEP_3) | instskip(NEXT) | instid1(VALU_DEP_1)
	v_lshlrev_b64 v[4:5], 1, v[4:5]
	v_add_co_u32 v4, vcc_lo, v6, v4
	s_delay_alu instid0(VALU_DEP_2)
	v_add_co_ci_u32_e32 v5, vcc_lo, v7, v5, vcc_lo
	global_load_u16 v4, v[4:5], off
	s_waitcnt vmcnt(0)
	v_cvt_f32_f16_e32 v4, v4
	s_branch .LBB66_4
.LBB66_3:
	v_mov_b32_e32 v4, 0
.LBB66_4:
	v_mul_hi_u32 v5, s25, v1
	v_mul_hi_u32 v6, s18, v2
	;; [unrolled: 1-line block ×4, first 2 shown]
	s_load_b64 s[2:3], s[0:1], 0xd8
	s_delay_alu instid0(VALU_DEP_4) | instskip(NEXT) | instid1(VALU_DEP_4)
	v_add_nc_u32_e32 v5, v1, v5
	v_add_nc_u32_e32 v6, v2, v6
	s_delay_alu instid0(VALU_DEP_4) | instskip(NEXT) | instid1(VALU_DEP_4)
	v_add_nc_u32_e32 v7, v3, v7
	v_add_nc_u32_e32 v8, v0, v8
	s_delay_alu instid0(VALU_DEP_4) | instskip(NEXT) | instid1(VALU_DEP_4)
	v_lshrrev_b32_e32 v5, s26, v5
	v_lshrrev_b32_e32 v6, s19, v6
	s_delay_alu instid0(VALU_DEP_4) | instskip(NEXT) | instid1(VALU_DEP_4)
	v_lshrrev_b32_e32 v7, s16, v7
	v_lshrrev_b32_e32 v8, s13, v8
	s_delay_alu instid0(VALU_DEP_4) | instskip(NEXT) | instid1(VALU_DEP_4)
	v_mul_lo_u32 v5, v5, s27
	v_mul_lo_u32 v6, v6, s24
	s_delay_alu instid0(VALU_DEP_4) | instskip(NEXT) | instid1(VALU_DEP_4)
	v_mul_lo_u32 v7, v7, s17
	v_mul_lo_u32 v8, v8, s14
	s_delay_alu instid0(VALU_DEP_4) | instskip(NEXT) | instid1(VALU_DEP_4)
	v_sub_nc_u32_e32 v5, v1, v5
	v_sub_nc_u32_e32 v6, v2, v6
	s_delay_alu instid0(VALU_DEP_4) | instskip(NEXT) | instid1(VALU_DEP_4)
	v_sub_nc_u32_e32 v7, v3, v7
	v_sub_nc_u32_e32 v8, v0, v8
	v_mul_lo_u32 v1, v1, s6
	v_mul_lo_u32 v5, v5, s22
	;; [unrolled: 1-line block ×5, first 2 shown]
	s_clause 0x1
	s_load_b256 s[8:15], s[0:1], 0xb8
	s_load_b64 s[0:1], s[0:1], 0x10
	v_mul_lo_u32 v2, v2, s5
	s_delay_alu instid0(VALU_DEP_3) | instskip(NEXT) | instid1(VALU_DEP_3)
	v_add3_u32 v5, v6, v5, v7
	v_ashrrev_i32_e32 v6, 31, v8
	s_delay_alu instid0(VALU_DEP_2) | instskip(SKIP_1) | instid1(VALU_DEP_2)
	v_ashrrev_i32_e32 v7, 31, v5
	v_add_co_u32 v5, vcc_lo, v8, v5
	v_add_co_ci_u32_e32 v6, vcc_lo, v6, v7, vcc_lo
	s_delay_alu instid0(VALU_DEP_1) | instskip(SKIP_1) | instid1(VALU_DEP_1)
	v_lshlrev_b64 v[5:6], 1, v[5:6]
	s_waitcnt lgkmcnt(0)
	v_add_co_u32 v7, vcc_lo, s8, v5
	s_delay_alu instid0(VALU_DEP_2)
	v_add_co_ci_u32_e32 v8, vcc_lo, s9, v6, vcc_lo
	v_add_co_u32 v9, vcc_lo, s10, v5
	v_add_co_ci_u32_e32 v10, vcc_lo, s11, v6, vcc_lo
	global_load_u16 v11, v[7:8], off
	v_add_co_u32 v7, vcc_lo, s12, v5
	v_add_co_ci_u32_e32 v8, vcc_lo, s13, v6, vcc_lo
	global_load_u16 v12, v[9:10], off
	;; [unrolled: 3-line block ×4, first 2 shown]
	global_load_u16 v5, v[5:6], off
	s_waitcnt vmcnt(4)
	v_cvt_f32_f16_e32 v6, v11
	s_waitcnt vmcnt(3)
	v_cvt_f32_f16_e32 v9, v12
	s_delay_alu instid0(VALU_DEP_2)
	v_add_f32_e32 v4, v4, v6
	v_mul_lo_u32 v6, v3, s4
	v_mov_b32_e32 v3, 0
	s_waitcnt vmcnt(2)
	v_cvt_f32_f16_e32 v7, v7
	v_add_f32_e32 v4, v4, v9
	s_delay_alu instid0(VALU_DEP_4)
	v_add3_u32 v2, v2, v1, v6
	v_mov_b32_e32 v1, v3
	s_waitcnt vmcnt(1)
	v_cvt_f32_f16_e32 v8, v8
	v_add_f32_e32 v4, v4, v7
	s_waitcnt vmcnt(0)
	v_cvt_f32_f16_e32 v5, v5
	v_lshlrev_b64 v[2:3], 1, v[2:3]
	v_lshlrev_b64 v[0:1], 1, v[0:1]
	v_add_f32_e32 v4, v4, v8
	s_delay_alu instid0(VALU_DEP_3) | instskip(NEXT) | instid1(VALU_DEP_2)
	v_add_co_u32 v2, vcc_lo, s0, v2
	v_add_f32_e32 v4, v4, v5
	v_add_co_ci_u32_e32 v3, vcc_lo, s1, v3, vcc_lo
	s_delay_alu instid0(VALU_DEP_3) | instskip(NEXT) | instid1(VALU_DEP_3)
	v_add_co_u32 v0, vcc_lo, v2, v0
	v_cvt_f16_f32_e32 v4, v4
	s_delay_alu instid0(VALU_DEP_3)
	v_add_co_ci_u32_e32 v1, vcc_lo, v3, v1, vcc_lo
	global_store_b16 v[0:1], v4, off
.LBB66_5:
	s_nop 0
	s_sendmsg sendmsg(MSG_DEALLOC_VGPRS)
	s_endpgm
	.section	.rodata,"a",@progbits
	.p2align	6, 0x0
	.amdhsa_kernel _ZL19k_bin_bcast_unravelIXadL_ZL6op_addffEE6__halfS0_S0_JPKS0_S2_S2_S2_S2_EEvPKT0_PKT1_PT2_15HIP_vector_typeIjLj3EESC_SC_jSC_SC_SC_SC_SC_SC_iiiiiiiiiiiDpT3_
		.amdhsa_group_segment_fixed_size 0
		.amdhsa_private_segment_fixed_size 0
		.amdhsa_kernarg_size 480
		.amdhsa_user_sgpr_count 15
		.amdhsa_user_sgpr_dispatch_ptr 0
		.amdhsa_user_sgpr_queue_ptr 0
		.amdhsa_user_sgpr_kernarg_segment_ptr 1
		.amdhsa_user_sgpr_dispatch_id 0
		.amdhsa_user_sgpr_private_segment_size 0
		.amdhsa_wavefront_size32 1
		.amdhsa_uses_dynamic_stack 0
		.amdhsa_enable_private_segment 0
		.amdhsa_system_sgpr_workgroup_id_x 1
		.amdhsa_system_sgpr_workgroup_id_y 0
		.amdhsa_system_sgpr_workgroup_id_z 0
		.amdhsa_system_sgpr_workgroup_info 0
		.amdhsa_system_vgpr_workitem_id 0
		.amdhsa_next_free_vgpr 13
		.amdhsa_next_free_sgpr 28
		.amdhsa_reserve_vcc 1
		.amdhsa_float_round_mode_32 0
		.amdhsa_float_round_mode_16_64 0
		.amdhsa_float_denorm_mode_32 3
		.amdhsa_float_denorm_mode_16_64 3
		.amdhsa_dx10_clamp 1
		.amdhsa_ieee_mode 1
		.amdhsa_fp16_overflow 0
		.amdhsa_workgroup_processor_mode 1
		.amdhsa_memory_ordered 1
		.amdhsa_forward_progress 0
		.amdhsa_shared_vgpr_count 0
		.amdhsa_exception_fp_ieee_invalid_op 0
		.amdhsa_exception_fp_denorm_src 0
		.amdhsa_exception_fp_ieee_div_zero 0
		.amdhsa_exception_fp_ieee_overflow 0
		.amdhsa_exception_fp_ieee_underflow 0
		.amdhsa_exception_fp_ieee_inexact 0
		.amdhsa_exception_int_div_zero 0
	.end_amdhsa_kernel
	.section	.text._ZL19k_bin_bcast_unravelIXadL_ZL6op_addffEE6__halfS0_S0_JPKS0_S2_S2_S2_S2_EEvPKT0_PKT1_PT2_15HIP_vector_typeIjLj3EESC_SC_jSC_SC_SC_SC_SC_SC_iiiiiiiiiiiDpT3_,"axG",@progbits,_ZL19k_bin_bcast_unravelIXadL_ZL6op_addffEE6__halfS0_S0_JPKS0_S2_S2_S2_S2_EEvPKT0_PKT1_PT2_15HIP_vector_typeIjLj3EESC_SC_jSC_SC_SC_SC_SC_SC_iiiiiiiiiiiDpT3_,comdat
.Lfunc_end66:
	.size	_ZL19k_bin_bcast_unravelIXadL_ZL6op_addffEE6__halfS0_S0_JPKS0_S2_S2_S2_S2_EEvPKT0_PKT1_PT2_15HIP_vector_typeIjLj3EESC_SC_jSC_SC_SC_SC_SC_SC_iiiiiiiiiiiDpT3_, .Lfunc_end66-_ZL19k_bin_bcast_unravelIXadL_ZL6op_addffEE6__halfS0_S0_JPKS0_S2_S2_S2_S2_EEvPKT0_PKT1_PT2_15HIP_vector_typeIjLj3EESC_SC_jSC_SC_SC_SC_SC_SC_iiiiiiiiiiiDpT3_
                                        ; -- End function
	.section	.AMDGPU.csdata,"",@progbits
; Kernel info:
; codeLenInByte = 964
; NumSgprs: 30
; NumVgprs: 13
; ScratchSize: 0
; MemoryBound: 0
; FloatMode: 240
; IeeeMode: 1
; LDSByteSize: 0 bytes/workgroup (compile time only)
; SGPRBlocks: 3
; VGPRBlocks: 1
; NumSGPRsForWavesPerEU: 30
; NumVGPRsForWavesPerEU: 13
; Occupancy: 16
; WaveLimiterHint : 1
; COMPUTE_PGM_RSRC2:SCRATCH_EN: 0
; COMPUTE_PGM_RSRC2:USER_SGPR: 15
; COMPUTE_PGM_RSRC2:TRAP_HANDLER: 0
; COMPUTE_PGM_RSRC2:TGID_X_EN: 1
; COMPUTE_PGM_RSRC2:TGID_Y_EN: 0
; COMPUTE_PGM_RSRC2:TGID_Z_EN: 0
; COMPUTE_PGM_RSRC2:TIDIG_COMP_CNT: 0
	.section	.text._ZL11k_bin_bcastIXadL_ZL6op_addffEE6__halfS0_S0_JPKS0_S2_S2_S2_S2_EEvPKT0_PKT1_PT2_iii15HIP_vector_typeIjLj3EESC_SC_SC_SC_iiiiiiiiiiiDpT3_,"axG",@progbits,_ZL11k_bin_bcastIXadL_ZL6op_addffEE6__halfS0_S0_JPKS0_S2_S2_S2_S2_EEvPKT0_PKT1_PT2_iii15HIP_vector_typeIjLj3EESC_SC_SC_SC_iiiiiiiiiiiDpT3_,comdat
	.globl	_ZL11k_bin_bcastIXadL_ZL6op_addffEE6__halfS0_S0_JPKS0_S2_S2_S2_S2_EEvPKT0_PKT1_PT2_iii15HIP_vector_typeIjLj3EESC_SC_SC_SC_iiiiiiiiiiiDpT3_ ; -- Begin function _ZL11k_bin_bcastIXadL_ZL6op_addffEE6__halfS0_S0_JPKS0_S2_S2_S2_S2_EEvPKT0_PKT1_PT2_iii15HIP_vector_typeIjLj3EESC_SC_SC_SC_iiiiiiiiiiiDpT3_
	.p2align	8
	.type	_ZL11k_bin_bcastIXadL_ZL6op_addffEE6__halfS0_S0_JPKS0_S2_S2_S2_S2_EEvPKT0_PKT1_PT2_iii15HIP_vector_typeIjLj3EESC_SC_SC_SC_iiiiiiiiiiiDpT3_,@function
_ZL11k_bin_bcastIXadL_ZL6op_addffEE6__halfS0_S0_JPKS0_S2_S2_S2_S2_EEvPKT0_PKT1_PT2_iii15HIP_vector_typeIjLj3EESC_SC_SC_SC_iiiiiiiiiiiDpT3_: ; @_ZL11k_bin_bcastIXadL_ZL6op_addffEE6__halfS0_S0_JPKS0_S2_S2_S2_S2_EEvPKT0_PKT1_PT2_iii15HIP_vector_typeIjLj3EESC_SC_SC_SC_iiiiiiiiiiiDpT3_
; %bb.0:
	s_clause 0x1
	s_load_b64 s[2:3], s[0:1], 0xc4
	s_load_b256 s[16:23], s[0:1], 0x18
	v_bfe_u32 v1, v0, 20, 10
	s_add_u32 s34, s0, 0xb8
	s_addc_u32 s35, s1, 0
	s_waitcnt lgkmcnt(0)
	s_and_b32 s3, s3, 0xffff
	s_delay_alu instid0(SALU_CYCLE_1) | instskip(SKIP_3) | instid1(VALU_DEP_3)
	v_mad_u64_u32 v[4:5], null, s15, s3, v[1:2]
	v_and_b32_e32 v2, 0x3ff, v0
	v_bfe_u32 v5, v0, 10, 10
	s_lshr_b32 s3, s2, 16
	v_mul_hi_u32 v1, v4, s19
	s_delay_alu instid0(VALU_DEP_1) | instskip(NEXT) | instid1(VALU_DEP_1)
	v_add_nc_u32_e32 v1, v4, v1
	v_lshrrev_b32_e32 v3, s20, v1
	s_and_b32 s20, s2, 0xffff
	s_delay_alu instid0(VALU_DEP_1) | instskip(SKIP_1) | instid1(VALU_DEP_2)
	v_mul_lo_u32 v6, v3, s21
	v_mad_u64_u32 v[0:1], null, s13, s20, v[2:3]
	v_mad_u64_u32 v[1:2], null, s14, s3, v[5:6]
	v_sub_nc_u32_e32 v4, v4, v6
	s_delay_alu instid0(VALU_DEP_3) | instskip(SKIP_1) | instid1(VALU_DEP_3)
	v_cmp_gt_u32_e32 vcc_lo, s16, v0
	v_cmp_gt_u32_e64 s3, s18, v3
	v_cmp_gt_u32_e64 s4, s21, v4
	;; [unrolled: 1-line block ×3, first 2 shown]
	s_delay_alu instid0(VALU_DEP_1)
	s_and_b32 s2, vcc_lo, s2
	s_delay_alu instid0(VALU_DEP_3) | instid1(SALU_CYCLE_1)
	s_and_b32 s2, s2, s3
	s_delay_alu instid0(VALU_DEP_2) | instid1(SALU_CYCLE_1)
	s_and_b32 s2, s2, s4
	s_delay_alu instid0(SALU_CYCLE_1)
	s_and_saveexec_b32 s3, s2
	s_cbranch_execz .LBB67_6
; %bb.1:
	v_cmp_gt_i32_e32 vcc_lo, s16, v0
	s_and_b32 exec_lo, exec_lo, vcc_lo
	s_cbranch_execz .LBB67_6
; %bb.2:
	s_clause 0x2
	s_load_b256 s[24:31], s[0:1], 0x3c
	s_load_b256 s[4:11], s[0:1], 0x60
	s_load_b128 s[12:15], s[0:1], 0x80
	s_waitcnt lgkmcnt(0)
	s_load_b32 s15, s[34:35], 0x0
	s_clause 0x4
	s_load_b32 s17, s[0:1], 0x5c
	s_load_b64 s[34:35], s[0:1], 0x0
	s_load_b32 s21, s[0:1], 0x38
	s_load_b64 s[18:19], s[0:1], 0x10
	s_load_b64 s[2:3], s[0:1], 0xb0
	v_mul_hi_u32 v2, s24, v1
	v_mul_hi_u32 v5, s27, v3
	;; [unrolled: 1-line block ×3, first 2 shown]
	v_mul_lo_u32 v9, v4, s10
	v_mul_lo_u32 v10, v3, s9
	;; [unrolled: 1-line block ×3, first 2 shown]
	v_mov_b32_e32 v6, 0
	v_mul_lo_u32 v12, v4, s6
	v_add_nc_u32_e32 v2, v1, v2
	v_add_nc_u32_e32 v5, v3, v5
	s_delay_alu instid0(VALU_DEP_4) | instskip(SKIP_1) | instid1(VALU_DEP_4)
	v_dual_mov_b32 v8, v6 :: v_dual_add_nc_u32 v7, v4, v7
	v_mul_lo_u32 v13, v3, s5
	v_lshrrev_b32_e32 v2, s25, v2
	s_delay_alu instid0(VALU_DEP_4) | instskip(NEXT) | instid1(VALU_DEP_4)
	v_lshrrev_b32_e32 v15, s28, v5
	v_lshrrev_b32_e32 v16, s31, v7
	v_add3_u32 v5, v10, v11, v9
	v_mul_lo_u32 v14, v1, s4
	v_mul_lo_u32 v9, v2, s26
	;; [unrolled: 1-line block ×3, first 2 shown]
	s_waitcnt lgkmcnt(0)
	v_mul_lo_u32 v11, v16, s17
	v_lshlrev_b64 v[5:6], 1, v[5:6]
	s_load_b256 s[24:31], s[0:1], 0x90
	s_cmp_lg_u64 s[34:35], 0
	v_mul_lo_u32 v2, s7, v0
	v_add3_u32 v7, v13, v14, v12
	v_sub_nc_u32_e32 v1, v1, v9
	v_sub_nc_u32_e32 v3, v3, v10
	;; [unrolled: 1-line block ×3, first 2 shown]
	v_add_co_u32 v9, vcc_lo, s34, v5
	v_add_co_ci_u32_e32 v5, vcc_lo, s35, v6, vcc_lo
	v_lshlrev_b64 v[7:8], 1, v[7:8]
	s_delay_alu instid0(VALU_DEP_4)
	v_mul_lo_u32 v10, v4, s14
	v_mul_lo_u32 v3, v3, s13
	;; [unrolled: 1-line block ×3, first 2 shown]
	s_cselect_b32 vcc_lo, -1, 0
	s_mul_i32 s4, s15, s20
	v_cndmask_b32_e32 v5, 0, v5, vcc_lo
	v_cndmask_b32_e32 v4, 0, v9, vcc_lo
	v_add_co_u32 v6, vcc_lo, s18, v7
	v_add_co_ci_u32_e32 v7, vcc_lo, s19, v8, vcc_lo
	s_delay_alu instid0(VALU_DEP_3)
	v_cmp_ne_u64_e32 vcc_lo, 0, v[4:5]
	v_add3_u32 v8, v3, v10, v1
	s_mov_b32 s5, 0
	s_mul_i32 s6, s4, s7
	s_sub_i32 s7, 0, s21
	s_branch .LBB67_4
.LBB67_3:                               ;   in Loop: Header=BB67_4 Depth=1
	s_or_b32 exec_lo, exec_lo, s1
	v_mul_hi_u32 v3, s22, v0
	v_add_nc_u32_e32 v2, s6, v2
	s_delay_alu instid0(VALU_DEP_2) | instskip(NEXT) | instid1(VALU_DEP_1)
	v_add_nc_u32_e32 v3, v0, v3
	v_lshrrev_b32_e32 v3, s23, v3
	s_delay_alu instid0(VALU_DEP_1) | instskip(NEXT) | instid1(VALU_DEP_1)
	v_mad_u64_u32 v[9:10], null, s7, v3, v[0:1]
	v_mul_lo_u32 v3, v9, s11
	s_delay_alu instid0(VALU_DEP_1) | instskip(NEXT) | instid1(VALU_DEP_1)
	v_add_co_u32 v9, s0, v3, v8
	v_add_co_ci_u32_e64 v10, null, 0, 0, s0
	s_delay_alu instid0(VALU_DEP_1) | instskip(SKIP_1) | instid1(VALU_DEP_1)
	v_lshlrev_b64 v[9:10], 1, v[9:10]
	s_waitcnt lgkmcnt(0)
	v_add_co_u32 v11, s0, s24, v9
	s_delay_alu instid0(VALU_DEP_1) | instskip(SKIP_1) | instid1(VALU_DEP_1)
	v_add_co_ci_u32_e64 v12, s0, s25, v10, s0
	v_add_co_u32 v13, s0, s26, v9
	v_add_co_ci_u32_e64 v14, s0, s27, v10, s0
	global_load_u16 v3, v[11:12], off
	v_add_co_u32 v11, s0, s28, v9
	s_delay_alu instid0(VALU_DEP_1) | instskip(SKIP_2) | instid1(VALU_DEP_1)
	v_add_co_ci_u32_e64 v12, s0, s29, v10, s0
	global_load_u16 v15, v[13:14], off
	v_add_co_u32 v13, s0, s30, v9
	v_add_co_ci_u32_e64 v14, s0, s31, v10, s0
	global_load_u16 v11, v[11:12], off
	v_add_co_u32 v9, s0, s2, v9
	s_delay_alu instid0(VALU_DEP_1)
	v_add_co_ci_u32_e64 v10, s0, s3, v10, s0
	global_load_u16 v12, v[13:14], off
	global_load_u16 v9, v[9:10], off
	s_waitcnt vmcnt(4)
	v_cvt_f32_f16_e32 v3, v3
	s_waitcnt vmcnt(3)
	v_cvt_f32_f16_e32 v10, v15
	s_delay_alu instid0(VALU_DEP_2) | instskip(SKIP_2) | instid1(VALU_DEP_2)
	v_add_f32_e32 v1, v1, v3
	s_waitcnt vmcnt(2)
	v_cvt_f32_f16_e32 v3, v11
	v_add_f32_e32 v1, v1, v10
	s_waitcnt vmcnt(1)
	v_cvt_f32_f16_e32 v10, v12
	s_delay_alu instid0(VALU_DEP_2) | instskip(SKIP_3) | instid1(VALU_DEP_3)
	v_add_f32_e32 v3, v1, v3
	v_ashrrev_i32_e32 v1, 31, v0
	s_waitcnt vmcnt(0)
	v_cvt_f32_f16_e32 v11, v9
	v_add_f32_e32 v3, v3, v10
	s_delay_alu instid0(VALU_DEP_3) | instskip(NEXT) | instid1(VALU_DEP_2)
	v_lshlrev_b64 v[9:10], 1, v[0:1]
	v_dual_add_f32 v1, v3, v11 :: v_dual_add_nc_u32 v0, s4, v0
	s_delay_alu instid0(VALU_DEP_1) | instskip(NEXT) | instid1(VALU_DEP_3)
	v_cmp_le_i32_e64 s0, s16, v0
	v_add_co_u32 v9, s1, v6, v9
	s_delay_alu instid0(VALU_DEP_3) | instskip(SKIP_1) | instid1(VALU_DEP_4)
	v_cvt_f16_f32_e32 v1, v1
	v_add_co_ci_u32_e64 v10, s1, v7, v10, s1
	s_or_b32 s5, s0, s5
	global_store_b16 v[9:10], v1, off
	s_and_not1_b32 exec_lo, exec_lo, s5
	s_cbranch_execz .LBB67_6
.LBB67_4:                               ; =>This Inner Loop Header: Depth=1
	v_mov_b32_e32 v1, 0
	s_and_saveexec_b32 s1, vcc_lo
	s_cbranch_execz .LBB67_3
; %bb.5:                                ;   in Loop: Header=BB67_4 Depth=1
	v_ashrrev_i32_e32 v3, 31, v2
	s_delay_alu instid0(VALU_DEP_1) | instskip(NEXT) | instid1(VALU_DEP_1)
	v_lshlrev_b64 v[9:10], 1, v[2:3]
	v_add_co_u32 v9, s0, v4, v9
	s_delay_alu instid0(VALU_DEP_1)
	v_add_co_ci_u32_e64 v10, s0, v5, v10, s0
	global_load_u16 v1, v[9:10], off
	s_waitcnt vmcnt(0)
	v_cvt_f32_f16_e32 v1, v1
	s_branch .LBB67_3
.LBB67_6:
	s_nop 0
	s_sendmsg sendmsg(MSG_DEALLOC_VGPRS)
	s_endpgm
	.section	.rodata,"a",@progbits
	.p2align	6, 0x0
	.amdhsa_kernel _ZL11k_bin_bcastIXadL_ZL6op_addffEE6__halfS0_S0_JPKS0_S2_S2_S2_S2_EEvPKT0_PKT1_PT2_iii15HIP_vector_typeIjLj3EESC_SC_SC_SC_iiiiiiiiiiiDpT3_
		.amdhsa_group_segment_fixed_size 0
		.amdhsa_private_segment_fixed_size 0
		.amdhsa_kernarg_size 440
		.amdhsa_user_sgpr_count 13
		.amdhsa_user_sgpr_dispatch_ptr 0
		.amdhsa_user_sgpr_queue_ptr 0
		.amdhsa_user_sgpr_kernarg_segment_ptr 1
		.amdhsa_user_sgpr_dispatch_id 0
		.amdhsa_user_sgpr_private_segment_size 0
		.amdhsa_wavefront_size32 1
		.amdhsa_uses_dynamic_stack 0
		.amdhsa_enable_private_segment 0
		.amdhsa_system_sgpr_workgroup_id_x 1
		.amdhsa_system_sgpr_workgroup_id_y 1
		.amdhsa_system_sgpr_workgroup_id_z 1
		.amdhsa_system_sgpr_workgroup_info 0
		.amdhsa_system_vgpr_workitem_id 2
		.amdhsa_next_free_vgpr 17
		.amdhsa_next_free_sgpr 36
		.amdhsa_reserve_vcc 1
		.amdhsa_float_round_mode_32 0
		.amdhsa_float_round_mode_16_64 0
		.amdhsa_float_denorm_mode_32 3
		.amdhsa_float_denorm_mode_16_64 3
		.amdhsa_dx10_clamp 1
		.amdhsa_ieee_mode 1
		.amdhsa_fp16_overflow 0
		.amdhsa_workgroup_processor_mode 1
		.amdhsa_memory_ordered 1
		.amdhsa_forward_progress 0
		.amdhsa_shared_vgpr_count 0
		.amdhsa_exception_fp_ieee_invalid_op 0
		.amdhsa_exception_fp_denorm_src 0
		.amdhsa_exception_fp_ieee_div_zero 0
		.amdhsa_exception_fp_ieee_overflow 0
		.amdhsa_exception_fp_ieee_underflow 0
		.amdhsa_exception_fp_ieee_inexact 0
		.amdhsa_exception_int_div_zero 0
	.end_amdhsa_kernel
	.section	.text._ZL11k_bin_bcastIXadL_ZL6op_addffEE6__halfS0_S0_JPKS0_S2_S2_S2_S2_EEvPKT0_PKT1_PT2_iii15HIP_vector_typeIjLj3EESC_SC_SC_SC_iiiiiiiiiiiDpT3_,"axG",@progbits,_ZL11k_bin_bcastIXadL_ZL6op_addffEE6__halfS0_S0_JPKS0_S2_S2_S2_S2_EEvPKT0_PKT1_PT2_iii15HIP_vector_typeIjLj3EESC_SC_SC_SC_iiiiiiiiiiiDpT3_,comdat
.Lfunc_end67:
	.size	_ZL11k_bin_bcastIXadL_ZL6op_addffEE6__halfS0_S0_JPKS0_S2_S2_S2_S2_EEvPKT0_PKT1_PT2_iii15HIP_vector_typeIjLj3EESC_SC_SC_SC_iiiiiiiiiiiDpT3_, .Lfunc_end67-_ZL11k_bin_bcastIXadL_ZL6op_addffEE6__halfS0_S0_JPKS0_S2_S2_S2_S2_EEvPKT0_PKT1_PT2_iii15HIP_vector_typeIjLj3EESC_SC_SC_SC_iiiiiiiiiiiDpT3_
                                        ; -- End function
	.section	.AMDGPU.csdata,"",@progbits
; Kernel info:
; codeLenInByte = 1052
; NumSgprs: 38
; NumVgprs: 17
; ScratchSize: 0
; MemoryBound: 0
; FloatMode: 240
; IeeeMode: 1
; LDSByteSize: 0 bytes/workgroup (compile time only)
; SGPRBlocks: 4
; VGPRBlocks: 2
; NumSGPRsForWavesPerEU: 38
; NumVGPRsForWavesPerEU: 17
; Occupancy: 16
; WaveLimiterHint : 1
; COMPUTE_PGM_RSRC2:SCRATCH_EN: 0
; COMPUTE_PGM_RSRC2:USER_SGPR: 13
; COMPUTE_PGM_RSRC2:TRAP_HANDLER: 0
; COMPUTE_PGM_RSRC2:TGID_X_EN: 1
; COMPUTE_PGM_RSRC2:TGID_Y_EN: 1
; COMPUTE_PGM_RSRC2:TGID_Z_EN: 1
; COMPUTE_PGM_RSRC2:TIDIG_COMP_CNT: 2
	.section	.text._ZL19k_bin_bcast_unravelIXadL_ZL6op_addffEE6__halffS0_JPKfS2_S2_S2_S2_EEvPKT0_PKT1_PT2_15HIP_vector_typeIjLj3EESC_SC_jSC_SC_SC_SC_SC_SC_iiiiiiiiiiiDpT3_,"axG",@progbits,_ZL19k_bin_bcast_unravelIXadL_ZL6op_addffEE6__halffS0_JPKfS2_S2_S2_S2_EEvPKT0_PKT1_PT2_15HIP_vector_typeIjLj3EESC_SC_jSC_SC_SC_SC_SC_SC_iiiiiiiiiiiDpT3_,comdat
	.globl	_ZL19k_bin_bcast_unravelIXadL_ZL6op_addffEE6__halffS0_JPKfS2_S2_S2_S2_EEvPKT0_PKT1_PT2_15HIP_vector_typeIjLj3EESC_SC_jSC_SC_SC_SC_SC_SC_iiiiiiiiiiiDpT3_ ; -- Begin function _ZL19k_bin_bcast_unravelIXadL_ZL6op_addffEE6__halffS0_JPKfS2_S2_S2_S2_EEvPKT0_PKT1_PT2_15HIP_vector_typeIjLj3EESC_SC_jSC_SC_SC_SC_SC_SC_iiiiiiiiiiiDpT3_
	.p2align	8
	.type	_ZL19k_bin_bcast_unravelIXadL_ZL6op_addffEE6__halffS0_JPKfS2_S2_S2_S2_EEvPKT0_PKT1_PT2_15HIP_vector_typeIjLj3EESC_SC_jSC_SC_SC_SC_SC_SC_iiiiiiiiiiiDpT3_,@function
_ZL19k_bin_bcast_unravelIXadL_ZL6op_addffEE6__halffS0_JPKfS2_S2_S2_S2_EEvPKT0_PKT1_PT2_15HIP_vector_typeIjLj3EESC_SC_jSC_SC_SC_SC_SC_SC_iiiiiiiiiiiDpT3_: ; @_ZL19k_bin_bcast_unravelIXadL_ZL6op_addffEE6__halffS0_JPKfS2_S2_S2_S2_EEvPKT0_PKT1_PT2_15HIP_vector_typeIjLj3EESC_SC_jSC_SC_SC_SC_SC_SC_iiiiiiiiiiiDpT3_
; %bb.0:
	s_clause 0x1
	s_load_b32 s2, s[0:1], 0xec
	s_load_b256 s[4:11], s[0:1], 0x38
	s_waitcnt lgkmcnt(0)
	s_and_b32 s2, s2, 0xffff
	s_delay_alu instid0(SALU_CYCLE_1) | instskip(SKIP_3) | instid1(VALU_DEP_1)
	v_mad_u64_u32 v[2:3], null, s15, s2, v[0:1]
	s_clause 0x1
	s_load_b128 s[12:15], s[0:1], 0x18
	s_load_b32 s2, s[0:1], 0x2c
	v_mul_hi_u32 v0, v2, s6
	s_delay_alu instid0(VALU_DEP_1) | instskip(NEXT) | instid1(VALU_DEP_1)
	v_add_nc_u32_e32 v0, v2, v0
	v_lshrrev_b32_e32 v1, s7, v0
	s_delay_alu instid0(VALU_DEP_1) | instskip(NEXT) | instid1(VALU_DEP_1)
	v_mul_lo_u32 v0, v1, s8
	v_sub_nc_u32_e32 v0, v2, v0
	s_delay_alu instid0(VALU_DEP_1) | instskip(NEXT) | instid1(VALU_DEP_1)
	v_mul_hi_u32 v2, v0, s9
	v_add_nc_u32_e32 v2, v0, v2
	s_delay_alu instid0(VALU_DEP_1) | instskip(NEXT) | instid1(VALU_DEP_1)
	v_lshrrev_b32_e32 v2, s10, v2
	v_mul_lo_u32 v3, v2, s11
	v_cmp_gt_u32_e64 s3, s4, v2
	v_cmp_gt_u32_e64 s4, s5, v1
	s_delay_alu instid0(VALU_DEP_3) | instskip(SKIP_1) | instid1(VALU_DEP_1)
	v_sub_nc_u32_e32 v0, v0, v3
	s_waitcnt lgkmcnt(0)
	v_mul_hi_u32 v3, v0, s12
	s_delay_alu instid0(VALU_DEP_1) | instskip(NEXT) | instid1(VALU_DEP_1)
	v_add_nc_u32_e32 v3, v0, v3
	v_lshrrev_b32_e32 v3, s13, v3
	s_delay_alu instid0(VALU_DEP_1) | instskip(SKIP_1) | instid1(VALU_DEP_2)
	v_mul_lo_u32 v4, v3, s14
	v_cmp_gt_u32_e64 s2, s2, v3
	v_sub_nc_u32_e32 v0, v0, v4
	s_delay_alu instid0(VALU_DEP_1) | instskip(NEXT) | instid1(VALU_DEP_3)
	v_cmp_gt_u32_e32 vcc_lo, s14, v0
	s_and_b32 s2, vcc_lo, s2
	s_delay_alu instid0(SALU_CYCLE_1) | instskip(NEXT) | instid1(SALU_CYCLE_1)
	s_and_b32 s2, s2, s3
	s_and_b32 s2, s4, s2
	s_delay_alu instid0(SALU_CYCLE_1)
	s_and_saveexec_b32 s3, s2
	s_cbranch_execz .LBB68_5
; %bb.1:
	s_clause 0x4
	s_load_b64 s[2:3], s[0:1], 0x0
	s_load_b128 s[20:23], s[0:1], 0xa8
	s_load_b256 s[4:11], s[0:1], 0x88
	s_load_b128 s[24:27], s[0:1], 0x78
	s_load_b256 s[12:19], s[0:1], 0x58
	s_waitcnt lgkmcnt(0)
	s_cmp_eq_u64 s[2:3], 0
	s_cbranch_scc1 .LBB68_3
; %bb.2:
	v_mul_lo_u32 v4, v1, s10
	v_mul_lo_u32 v6, v2, s9
	;; [unrolled: 1-line block ×3, first 2 shown]
	v_mov_b32_e32 v5, 0
	s_delay_alu instid0(VALU_DEP_2) | instskip(NEXT) | instid1(VALU_DEP_1)
	v_add3_u32 v4, v6, v4, v7
	v_lshlrev_b64 v[6:7], 1, v[4:5]
	v_mul_lo_u32 v4, v0, s7
	s_delay_alu instid0(VALU_DEP_2) | instskip(NEXT) | instid1(VALU_DEP_3)
	v_add_co_u32 v6, vcc_lo, s2, v6
	v_add_co_ci_u32_e32 v7, vcc_lo, s3, v7, vcc_lo
	s_delay_alu instid0(VALU_DEP_3) | instskip(NEXT) | instid1(VALU_DEP_1)
	v_lshlrev_b64 v[4:5], 1, v[4:5]
	v_add_co_u32 v4, vcc_lo, v6, v4
	s_delay_alu instid0(VALU_DEP_2)
	v_add_co_ci_u32_e32 v5, vcc_lo, v7, v5, vcc_lo
	global_load_u16 v4, v[4:5], off
	s_waitcnt vmcnt(0)
	v_cvt_f32_f16_e32 v4, v4
	s_branch .LBB68_4
.LBB68_3:
	v_mov_b32_e32 v4, 0
.LBB68_4:
	v_mul_hi_u32 v5, s25, v1
	v_mul_hi_u32 v6, s18, v2
	;; [unrolled: 1-line block ×4, first 2 shown]
	s_load_b64 s[2:3], s[0:1], 0xd8
	s_delay_alu instid0(VALU_DEP_4) | instskip(NEXT) | instid1(VALU_DEP_4)
	v_add_nc_u32_e32 v5, v1, v5
	v_add_nc_u32_e32 v6, v2, v6
	s_delay_alu instid0(VALU_DEP_4) | instskip(NEXT) | instid1(VALU_DEP_4)
	v_add_nc_u32_e32 v7, v3, v7
	v_add_nc_u32_e32 v8, v0, v8
	s_delay_alu instid0(VALU_DEP_4) | instskip(NEXT) | instid1(VALU_DEP_4)
	v_lshrrev_b32_e32 v5, s26, v5
	v_lshrrev_b32_e32 v6, s19, v6
	s_delay_alu instid0(VALU_DEP_4) | instskip(NEXT) | instid1(VALU_DEP_4)
	v_lshrrev_b32_e32 v7, s16, v7
	v_lshrrev_b32_e32 v8, s13, v8
	s_delay_alu instid0(VALU_DEP_4) | instskip(NEXT) | instid1(VALU_DEP_4)
	v_mul_lo_u32 v5, v5, s27
	v_mul_lo_u32 v6, v6, s24
	s_delay_alu instid0(VALU_DEP_4) | instskip(NEXT) | instid1(VALU_DEP_4)
	v_mul_lo_u32 v7, v7, s17
	v_mul_lo_u32 v8, v8, s14
	s_delay_alu instid0(VALU_DEP_4) | instskip(NEXT) | instid1(VALU_DEP_4)
	v_sub_nc_u32_e32 v5, v1, v5
	v_sub_nc_u32_e32 v6, v2, v6
	s_delay_alu instid0(VALU_DEP_4) | instskip(NEXT) | instid1(VALU_DEP_4)
	v_sub_nc_u32_e32 v7, v3, v7
	v_sub_nc_u32_e32 v8, v0, v8
	v_mul_lo_u32 v1, v1, s6
	v_mul_lo_u32 v5, v5, s22
	v_mul_lo_u32 v6, v6, s21
	v_mul_lo_u32 v7, v7, s20
	v_mul_lo_u32 v8, v8, s11
	s_clause 0x1
	s_load_b256 s[8:15], s[0:1], 0xb8
	s_load_b64 s[0:1], s[0:1], 0x10
	v_mul_lo_u32 v2, v2, s5
	s_delay_alu instid0(VALU_DEP_3) | instskip(NEXT) | instid1(VALU_DEP_3)
	v_add3_u32 v5, v6, v5, v7
	v_ashrrev_i32_e32 v6, 31, v8
	s_delay_alu instid0(VALU_DEP_2) | instskip(SKIP_1) | instid1(VALU_DEP_2)
	v_ashrrev_i32_e32 v7, 31, v5
	v_add_co_u32 v5, vcc_lo, v8, v5
	v_add_co_ci_u32_e32 v6, vcc_lo, v6, v7, vcc_lo
	s_delay_alu instid0(VALU_DEP_1) | instskip(SKIP_1) | instid1(VALU_DEP_1)
	v_lshlrev_b64 v[5:6], 2, v[5:6]
	s_waitcnt lgkmcnt(0)
	v_add_co_u32 v7, vcc_lo, s8, v5
	s_delay_alu instid0(VALU_DEP_2)
	v_add_co_ci_u32_e32 v8, vcc_lo, s9, v6, vcc_lo
	v_add_co_u32 v9, vcc_lo, s10, v5
	v_add_co_ci_u32_e32 v10, vcc_lo, s11, v6, vcc_lo
	global_load_b32 v11, v[7:8], off
	v_add_co_u32 v7, vcc_lo, s12, v5
	v_add_co_ci_u32_e32 v8, vcc_lo, s13, v6, vcc_lo
	global_load_b32 v12, v[9:10], off
	v_add_co_u32 v9, vcc_lo, s14, v5
	v_add_co_ci_u32_e32 v10, vcc_lo, s15, v6, vcc_lo
	global_load_b32 v7, v[7:8], off
	v_add_co_u32 v5, vcc_lo, s2, v5
	v_add_co_ci_u32_e32 v6, vcc_lo, s3, v6, vcc_lo
	global_load_b32 v8, v[9:10], off
	global_load_b32 v5, v[5:6], off
	v_mul_lo_u32 v6, v3, s4
	v_mov_b32_e32 v3, 0
	s_delay_alu instid0(VALU_DEP_2) | instskip(NEXT) | instid1(VALU_DEP_2)
	v_add3_u32 v2, v2, v1, v6
	v_mov_b32_e32 v1, v3
	s_delay_alu instid0(VALU_DEP_2) | instskip(NEXT) | instid1(VALU_DEP_2)
	v_lshlrev_b64 v[2:3], 1, v[2:3]
	v_lshlrev_b64 v[0:1], 1, v[0:1]
	s_delay_alu instid0(VALU_DEP_2) | instskip(NEXT) | instid1(VALU_DEP_3)
	v_add_co_u32 v2, vcc_lo, s0, v2
	v_add_co_ci_u32_e32 v3, vcc_lo, s1, v3, vcc_lo
	s_delay_alu instid0(VALU_DEP_2) | instskip(NEXT) | instid1(VALU_DEP_2)
	v_add_co_u32 v0, vcc_lo, v2, v0
	v_add_co_ci_u32_e32 v1, vcc_lo, v3, v1, vcc_lo
	s_waitcnt vmcnt(4)
	v_add_f32_e32 v4, v4, v11
	s_waitcnt vmcnt(3)
	s_delay_alu instid0(VALU_DEP_1) | instskip(SKIP_1) | instid1(VALU_DEP_1)
	v_add_f32_e32 v4, v4, v12
	s_waitcnt vmcnt(2)
	v_add_f32_e32 v4, v4, v7
	s_waitcnt vmcnt(1)
	s_delay_alu instid0(VALU_DEP_1) | instskip(SKIP_1) | instid1(VALU_DEP_1)
	v_add_f32_e32 v4, v4, v8
	s_waitcnt vmcnt(0)
	v_add_f32_e32 v4, v4, v5
	s_delay_alu instid0(VALU_DEP_1)
	v_cvt_f16_f32_e32 v4, v4
	global_store_b16 v[0:1], v4, off
.LBB68_5:
	s_nop 0
	s_sendmsg sendmsg(MSG_DEALLOC_VGPRS)
	s_endpgm
	.section	.rodata,"a",@progbits
	.p2align	6, 0x0
	.amdhsa_kernel _ZL19k_bin_bcast_unravelIXadL_ZL6op_addffEE6__halffS0_JPKfS2_S2_S2_S2_EEvPKT0_PKT1_PT2_15HIP_vector_typeIjLj3EESC_SC_jSC_SC_SC_SC_SC_SC_iiiiiiiiiiiDpT3_
		.amdhsa_group_segment_fixed_size 0
		.amdhsa_private_segment_fixed_size 0
		.amdhsa_kernarg_size 480
		.amdhsa_user_sgpr_count 15
		.amdhsa_user_sgpr_dispatch_ptr 0
		.amdhsa_user_sgpr_queue_ptr 0
		.amdhsa_user_sgpr_kernarg_segment_ptr 1
		.amdhsa_user_sgpr_dispatch_id 0
		.amdhsa_user_sgpr_private_segment_size 0
		.amdhsa_wavefront_size32 1
		.amdhsa_uses_dynamic_stack 0
		.amdhsa_enable_private_segment 0
		.amdhsa_system_sgpr_workgroup_id_x 1
		.amdhsa_system_sgpr_workgroup_id_y 0
		.amdhsa_system_sgpr_workgroup_id_z 0
		.amdhsa_system_sgpr_workgroup_info 0
		.amdhsa_system_vgpr_workitem_id 0
		.amdhsa_next_free_vgpr 13
		.amdhsa_next_free_sgpr 28
		.amdhsa_reserve_vcc 1
		.amdhsa_float_round_mode_32 0
		.amdhsa_float_round_mode_16_64 0
		.amdhsa_float_denorm_mode_32 3
		.amdhsa_float_denorm_mode_16_64 3
		.amdhsa_dx10_clamp 1
		.amdhsa_ieee_mode 1
		.amdhsa_fp16_overflow 0
		.amdhsa_workgroup_processor_mode 1
		.amdhsa_memory_ordered 1
		.amdhsa_forward_progress 0
		.amdhsa_shared_vgpr_count 0
		.amdhsa_exception_fp_ieee_invalid_op 0
		.amdhsa_exception_fp_denorm_src 0
		.amdhsa_exception_fp_ieee_div_zero 0
		.amdhsa_exception_fp_ieee_overflow 0
		.amdhsa_exception_fp_ieee_underflow 0
		.amdhsa_exception_fp_ieee_inexact 0
		.amdhsa_exception_int_div_zero 0
	.end_amdhsa_kernel
	.section	.text._ZL19k_bin_bcast_unravelIXadL_ZL6op_addffEE6__halffS0_JPKfS2_S2_S2_S2_EEvPKT0_PKT1_PT2_15HIP_vector_typeIjLj3EESC_SC_jSC_SC_SC_SC_SC_SC_iiiiiiiiiiiDpT3_,"axG",@progbits,_ZL19k_bin_bcast_unravelIXadL_ZL6op_addffEE6__halffS0_JPKfS2_S2_S2_S2_EEvPKT0_PKT1_PT2_15HIP_vector_typeIjLj3EESC_SC_jSC_SC_SC_SC_SC_SC_iiiiiiiiiiiDpT3_,comdat
.Lfunc_end68:
	.size	_ZL19k_bin_bcast_unravelIXadL_ZL6op_addffEE6__halffS0_JPKfS2_S2_S2_S2_EEvPKT0_PKT1_PT2_15HIP_vector_typeIjLj3EESC_SC_jSC_SC_SC_SC_SC_SC_iiiiiiiiiiiDpT3_, .Lfunc_end68-_ZL19k_bin_bcast_unravelIXadL_ZL6op_addffEE6__halffS0_JPKfS2_S2_S2_S2_EEvPKT0_PKT1_PT2_15HIP_vector_typeIjLj3EESC_SC_jSC_SC_SC_SC_SC_SC_iiiiiiiiiiiDpT3_
                                        ; -- End function
	.section	.AMDGPU.csdata,"",@progbits
; Kernel info:
; codeLenInByte = 952
; NumSgprs: 30
; NumVgprs: 13
; ScratchSize: 0
; MemoryBound: 0
; FloatMode: 240
; IeeeMode: 1
; LDSByteSize: 0 bytes/workgroup (compile time only)
; SGPRBlocks: 3
; VGPRBlocks: 1
; NumSGPRsForWavesPerEU: 30
; NumVGPRsForWavesPerEU: 13
; Occupancy: 16
; WaveLimiterHint : 1
; COMPUTE_PGM_RSRC2:SCRATCH_EN: 0
; COMPUTE_PGM_RSRC2:USER_SGPR: 15
; COMPUTE_PGM_RSRC2:TRAP_HANDLER: 0
; COMPUTE_PGM_RSRC2:TGID_X_EN: 1
; COMPUTE_PGM_RSRC2:TGID_Y_EN: 0
; COMPUTE_PGM_RSRC2:TGID_Z_EN: 0
; COMPUTE_PGM_RSRC2:TIDIG_COMP_CNT: 0
	.section	.text._ZL11k_bin_bcastIXadL_ZL6op_addffEE6__halffS0_JPKfS2_S2_S2_S2_EEvPKT0_PKT1_PT2_iii15HIP_vector_typeIjLj3EESC_SC_SC_SC_iiiiiiiiiiiDpT3_,"axG",@progbits,_ZL11k_bin_bcastIXadL_ZL6op_addffEE6__halffS0_JPKfS2_S2_S2_S2_EEvPKT0_PKT1_PT2_iii15HIP_vector_typeIjLj3EESC_SC_SC_SC_iiiiiiiiiiiDpT3_,comdat
	.globl	_ZL11k_bin_bcastIXadL_ZL6op_addffEE6__halffS0_JPKfS2_S2_S2_S2_EEvPKT0_PKT1_PT2_iii15HIP_vector_typeIjLj3EESC_SC_SC_SC_iiiiiiiiiiiDpT3_ ; -- Begin function _ZL11k_bin_bcastIXadL_ZL6op_addffEE6__halffS0_JPKfS2_S2_S2_S2_EEvPKT0_PKT1_PT2_iii15HIP_vector_typeIjLj3EESC_SC_SC_SC_iiiiiiiiiiiDpT3_
	.p2align	8
	.type	_ZL11k_bin_bcastIXadL_ZL6op_addffEE6__halffS0_JPKfS2_S2_S2_S2_EEvPKT0_PKT1_PT2_iii15HIP_vector_typeIjLj3EESC_SC_SC_SC_iiiiiiiiiiiDpT3_,@function
_ZL11k_bin_bcastIXadL_ZL6op_addffEE6__halffS0_JPKfS2_S2_S2_S2_EEvPKT0_PKT1_PT2_iii15HIP_vector_typeIjLj3EESC_SC_SC_SC_iiiiiiiiiiiDpT3_: ; @_ZL11k_bin_bcastIXadL_ZL6op_addffEE6__halffS0_JPKfS2_S2_S2_S2_EEvPKT0_PKT1_PT2_iii15HIP_vector_typeIjLj3EESC_SC_SC_SC_iiiiiiiiiiiDpT3_
; %bb.0:
	s_clause 0x1
	s_load_b64 s[2:3], s[0:1], 0xc4
	s_load_b256 s[16:23], s[0:1], 0x18
	v_bfe_u32 v1, v0, 20, 10
	s_add_u32 s34, s0, 0xb8
	s_addc_u32 s35, s1, 0
	s_waitcnt lgkmcnt(0)
	s_and_b32 s3, s3, 0xffff
	s_delay_alu instid0(SALU_CYCLE_1) | instskip(SKIP_3) | instid1(VALU_DEP_3)
	v_mad_u64_u32 v[4:5], null, s15, s3, v[1:2]
	v_and_b32_e32 v2, 0x3ff, v0
	v_bfe_u32 v5, v0, 10, 10
	s_lshr_b32 s3, s2, 16
	v_mul_hi_u32 v1, v4, s19
	s_delay_alu instid0(VALU_DEP_1) | instskip(NEXT) | instid1(VALU_DEP_1)
	v_add_nc_u32_e32 v1, v4, v1
	v_lshrrev_b32_e32 v3, s20, v1
	s_and_b32 s20, s2, 0xffff
	s_delay_alu instid0(VALU_DEP_1) | instskip(SKIP_1) | instid1(VALU_DEP_2)
	v_mul_lo_u32 v6, v3, s21
	v_mad_u64_u32 v[0:1], null, s13, s20, v[2:3]
	v_mad_u64_u32 v[1:2], null, s14, s3, v[5:6]
	v_sub_nc_u32_e32 v4, v4, v6
	s_delay_alu instid0(VALU_DEP_3) | instskip(SKIP_1) | instid1(VALU_DEP_3)
	v_cmp_gt_u32_e32 vcc_lo, s16, v0
	v_cmp_gt_u32_e64 s3, s18, v3
	v_cmp_gt_u32_e64 s4, s21, v4
	;; [unrolled: 1-line block ×3, first 2 shown]
	s_delay_alu instid0(VALU_DEP_1)
	s_and_b32 s2, vcc_lo, s2
	s_delay_alu instid0(VALU_DEP_3) | instid1(SALU_CYCLE_1)
	s_and_b32 s2, s2, s3
	s_delay_alu instid0(VALU_DEP_2) | instid1(SALU_CYCLE_1)
	s_and_b32 s2, s2, s4
	s_delay_alu instid0(SALU_CYCLE_1)
	s_and_saveexec_b32 s3, s2
	s_cbranch_execz .LBB69_6
; %bb.1:
	v_cmp_gt_i32_e32 vcc_lo, s16, v0
	s_and_b32 exec_lo, exec_lo, vcc_lo
	s_cbranch_execz .LBB69_6
; %bb.2:
	s_clause 0x2
	s_load_b256 s[24:31], s[0:1], 0x3c
	s_load_b256 s[4:11], s[0:1], 0x60
	s_load_b128 s[12:15], s[0:1], 0x80
	s_waitcnt lgkmcnt(0)
	s_load_b32 s15, s[34:35], 0x0
	s_clause 0x4
	s_load_b32 s17, s[0:1], 0x5c
	s_load_b64 s[34:35], s[0:1], 0x0
	s_load_b32 s21, s[0:1], 0x38
	s_load_b64 s[18:19], s[0:1], 0x10
	s_load_b64 s[2:3], s[0:1], 0xb0
	v_mul_hi_u32 v2, s24, v1
	v_mul_hi_u32 v5, s27, v3
	;; [unrolled: 1-line block ×3, first 2 shown]
	v_mul_lo_u32 v9, v4, s10
	v_mul_lo_u32 v10, v3, s9
	v_mul_lo_u32 v11, v1, s8
	v_mov_b32_e32 v6, 0
	v_mul_lo_u32 v12, v4, s6
	v_add_nc_u32_e32 v2, v1, v2
	v_add_nc_u32_e32 v5, v3, v5
	s_delay_alu instid0(VALU_DEP_4) | instskip(SKIP_1) | instid1(VALU_DEP_4)
	v_dual_mov_b32 v8, v6 :: v_dual_add_nc_u32 v7, v4, v7
	v_mul_lo_u32 v13, v3, s5
	v_lshrrev_b32_e32 v2, s25, v2
	s_delay_alu instid0(VALU_DEP_4) | instskip(NEXT) | instid1(VALU_DEP_4)
	v_lshrrev_b32_e32 v15, s28, v5
	v_lshrrev_b32_e32 v16, s31, v7
	v_add3_u32 v5, v10, v11, v9
	v_mul_lo_u32 v14, v1, s4
	v_mul_lo_u32 v9, v2, s26
	;; [unrolled: 1-line block ×3, first 2 shown]
	s_waitcnt lgkmcnt(0)
	v_mul_lo_u32 v11, v16, s17
	v_lshlrev_b64 v[5:6], 1, v[5:6]
	s_load_b256 s[24:31], s[0:1], 0x90
	s_cmp_lg_u64 s[34:35], 0
	v_mul_lo_u32 v2, s7, v0
	v_add3_u32 v7, v13, v14, v12
	v_sub_nc_u32_e32 v1, v1, v9
	v_sub_nc_u32_e32 v3, v3, v10
	;; [unrolled: 1-line block ×3, first 2 shown]
	v_add_co_u32 v9, vcc_lo, s34, v5
	v_add_co_ci_u32_e32 v5, vcc_lo, s35, v6, vcc_lo
	v_lshlrev_b64 v[7:8], 1, v[7:8]
	s_delay_alu instid0(VALU_DEP_4)
	v_mul_lo_u32 v10, v4, s14
	v_mul_lo_u32 v3, v3, s13
	v_mul_lo_u32 v1, v1, s12
	s_cselect_b32 vcc_lo, -1, 0
	s_mul_i32 s4, s15, s20
	v_cndmask_b32_e32 v5, 0, v5, vcc_lo
	v_cndmask_b32_e32 v4, 0, v9, vcc_lo
	v_add_co_u32 v6, vcc_lo, s18, v7
	v_add_co_ci_u32_e32 v7, vcc_lo, s19, v8, vcc_lo
	s_delay_alu instid0(VALU_DEP_3)
	v_cmp_ne_u64_e32 vcc_lo, 0, v[4:5]
	v_add3_u32 v8, v3, v10, v1
	s_mov_b32 s5, 0
	s_mul_i32 s6, s4, s7
	s_sub_i32 s7, 0, s21
	s_branch .LBB69_4
.LBB69_3:                               ;   in Loop: Header=BB69_4 Depth=1
	s_or_b32 exec_lo, exec_lo, s1
	v_mul_hi_u32 v3, s22, v0
	v_add_nc_u32_e32 v2, s6, v2
	s_delay_alu instid0(VALU_DEP_2) | instskip(NEXT) | instid1(VALU_DEP_1)
	v_add_nc_u32_e32 v3, v0, v3
	v_lshrrev_b32_e32 v3, s23, v3
	s_delay_alu instid0(VALU_DEP_1) | instskip(NEXT) | instid1(VALU_DEP_1)
	v_mad_u64_u32 v[9:10], null, s7, v3, v[0:1]
	v_mul_lo_u32 v3, v9, s11
	s_delay_alu instid0(VALU_DEP_1) | instskip(NEXT) | instid1(VALU_DEP_1)
	v_add_co_u32 v9, s0, v3, v8
	v_add_co_ci_u32_e64 v10, null, 0, 0, s0
	s_delay_alu instid0(VALU_DEP_1) | instskip(SKIP_1) | instid1(VALU_DEP_1)
	v_lshlrev_b64 v[9:10], 2, v[9:10]
	s_waitcnt lgkmcnt(0)
	v_add_co_u32 v11, s0, s24, v9
	s_delay_alu instid0(VALU_DEP_1) | instskip(SKIP_1) | instid1(VALU_DEP_1)
	v_add_co_ci_u32_e64 v12, s0, s25, v10, s0
	v_add_co_u32 v13, s0, s26, v9
	v_add_co_ci_u32_e64 v14, s0, s27, v10, s0
	global_load_b32 v3, v[11:12], off
	v_add_co_u32 v11, s0, s28, v9
	s_delay_alu instid0(VALU_DEP_1) | instskip(SKIP_2) | instid1(VALU_DEP_1)
	v_add_co_ci_u32_e64 v12, s0, s29, v10, s0
	global_load_b32 v15, v[13:14], off
	v_add_co_u32 v13, s0, s30, v9
	v_add_co_ci_u32_e64 v14, s0, s31, v10, s0
	global_load_b32 v11, v[11:12], off
	v_add_co_u32 v9, s0, s2, v9
	s_delay_alu instid0(VALU_DEP_1)
	v_add_co_ci_u32_e64 v10, s0, s3, v10, s0
	global_load_b32 v12, v[13:14], off
	global_load_b32 v13, v[9:10], off
	s_waitcnt vmcnt(4)
	v_add_f32_e32 v1, v1, v3
	s_waitcnt vmcnt(3)
	s_delay_alu instid0(VALU_DEP_1) | instskip(SKIP_1) | instid1(VALU_DEP_1)
	v_add_f32_e32 v1, v1, v15
	s_waitcnt vmcnt(2)
	v_add_f32_e32 v3, v1, v11
	v_ashrrev_i32_e32 v1, 31, v0
	s_waitcnt vmcnt(1)
	s_delay_alu instid0(VALU_DEP_2) | instskip(NEXT) | instid1(VALU_DEP_2)
	v_add_f32_e32 v3, v3, v12
	v_lshlrev_b64 v[9:10], 1, v[0:1]
	s_waitcnt vmcnt(0)
	s_delay_alu instid0(VALU_DEP_2) | instskip(NEXT) | instid1(VALU_DEP_1)
	v_dual_add_f32 v1, v3, v13 :: v_dual_add_nc_u32 v0, s4, v0
	v_cmp_le_i32_e64 s0, s16, v0
	s_delay_alu instid0(VALU_DEP_3) | instskip(NEXT) | instid1(VALU_DEP_3)
	v_add_co_u32 v9, s1, v6, v9
	v_cvt_f16_f32_e32 v1, v1
	v_add_co_ci_u32_e64 v10, s1, v7, v10, s1
	s_delay_alu instid0(VALU_DEP_4)
	s_or_b32 s5, s0, s5
	global_store_b16 v[9:10], v1, off
	s_and_not1_b32 exec_lo, exec_lo, s5
	s_cbranch_execz .LBB69_6
.LBB69_4:                               ; =>This Inner Loop Header: Depth=1
	v_mov_b32_e32 v1, 0
	s_and_saveexec_b32 s1, vcc_lo
	s_cbranch_execz .LBB69_3
; %bb.5:                                ;   in Loop: Header=BB69_4 Depth=1
	v_ashrrev_i32_e32 v3, 31, v2
	s_delay_alu instid0(VALU_DEP_1) | instskip(NEXT) | instid1(VALU_DEP_1)
	v_lshlrev_b64 v[9:10], 1, v[2:3]
	v_add_co_u32 v9, s0, v4, v9
	s_delay_alu instid0(VALU_DEP_1)
	v_add_co_ci_u32_e64 v10, s0, v5, v10, s0
	global_load_u16 v1, v[9:10], off
	s_waitcnt vmcnt(0)
	v_cvt_f32_f16_e32 v1, v1
	s_branch .LBB69_3
.LBB69_6:
	s_nop 0
	s_sendmsg sendmsg(MSG_DEALLOC_VGPRS)
	s_endpgm
	.section	.rodata,"a",@progbits
	.p2align	6, 0x0
	.amdhsa_kernel _ZL11k_bin_bcastIXadL_ZL6op_addffEE6__halffS0_JPKfS2_S2_S2_S2_EEvPKT0_PKT1_PT2_iii15HIP_vector_typeIjLj3EESC_SC_SC_SC_iiiiiiiiiiiDpT3_
		.amdhsa_group_segment_fixed_size 0
		.amdhsa_private_segment_fixed_size 0
		.amdhsa_kernarg_size 440
		.amdhsa_user_sgpr_count 13
		.amdhsa_user_sgpr_dispatch_ptr 0
		.amdhsa_user_sgpr_queue_ptr 0
		.amdhsa_user_sgpr_kernarg_segment_ptr 1
		.amdhsa_user_sgpr_dispatch_id 0
		.amdhsa_user_sgpr_private_segment_size 0
		.amdhsa_wavefront_size32 1
		.amdhsa_uses_dynamic_stack 0
		.amdhsa_enable_private_segment 0
		.amdhsa_system_sgpr_workgroup_id_x 1
		.amdhsa_system_sgpr_workgroup_id_y 1
		.amdhsa_system_sgpr_workgroup_id_z 1
		.amdhsa_system_sgpr_workgroup_info 0
		.amdhsa_system_vgpr_workitem_id 2
		.amdhsa_next_free_vgpr 17
		.amdhsa_next_free_sgpr 36
		.amdhsa_reserve_vcc 1
		.amdhsa_float_round_mode_32 0
		.amdhsa_float_round_mode_16_64 0
		.amdhsa_float_denorm_mode_32 3
		.amdhsa_float_denorm_mode_16_64 3
		.amdhsa_dx10_clamp 1
		.amdhsa_ieee_mode 1
		.amdhsa_fp16_overflow 0
		.amdhsa_workgroup_processor_mode 1
		.amdhsa_memory_ordered 1
		.amdhsa_forward_progress 0
		.amdhsa_shared_vgpr_count 0
		.amdhsa_exception_fp_ieee_invalid_op 0
		.amdhsa_exception_fp_denorm_src 0
		.amdhsa_exception_fp_ieee_div_zero 0
		.amdhsa_exception_fp_ieee_overflow 0
		.amdhsa_exception_fp_ieee_underflow 0
		.amdhsa_exception_fp_ieee_inexact 0
		.amdhsa_exception_int_div_zero 0
	.end_amdhsa_kernel
	.section	.text._ZL11k_bin_bcastIXadL_ZL6op_addffEE6__halffS0_JPKfS2_S2_S2_S2_EEvPKT0_PKT1_PT2_iii15HIP_vector_typeIjLj3EESC_SC_SC_SC_iiiiiiiiiiiDpT3_,"axG",@progbits,_ZL11k_bin_bcastIXadL_ZL6op_addffEE6__halffS0_JPKfS2_S2_S2_S2_EEvPKT0_PKT1_PT2_iii15HIP_vector_typeIjLj3EESC_SC_SC_SC_iiiiiiiiiiiDpT3_,comdat
.Lfunc_end69:
	.size	_ZL11k_bin_bcastIXadL_ZL6op_addffEE6__halffS0_JPKfS2_S2_S2_S2_EEvPKT0_PKT1_PT2_iii15HIP_vector_typeIjLj3EESC_SC_SC_SC_iiiiiiiiiiiDpT3_, .Lfunc_end69-_ZL11k_bin_bcastIXadL_ZL6op_addffEE6__halffS0_JPKfS2_S2_S2_S2_EEvPKT0_PKT1_PT2_iii15HIP_vector_typeIjLj3EESC_SC_SC_SC_iiiiiiiiiiiDpT3_
                                        ; -- End function
	.section	.AMDGPU.csdata,"",@progbits
; Kernel info:
; codeLenInByte = 1032
; NumSgprs: 38
; NumVgprs: 17
; ScratchSize: 0
; MemoryBound: 0
; FloatMode: 240
; IeeeMode: 1
; LDSByteSize: 0 bytes/workgroup (compile time only)
; SGPRBlocks: 4
; VGPRBlocks: 2
; NumSGPRsForWavesPerEU: 38
; NumVGPRsForWavesPerEU: 17
; Occupancy: 16
; WaveLimiterHint : 1
; COMPUTE_PGM_RSRC2:SCRATCH_EN: 0
; COMPUTE_PGM_RSRC2:USER_SGPR: 13
; COMPUTE_PGM_RSRC2:TRAP_HANDLER: 0
; COMPUTE_PGM_RSRC2:TGID_X_EN: 1
; COMPUTE_PGM_RSRC2:TGID_Y_EN: 1
; COMPUTE_PGM_RSRC2:TGID_Z_EN: 1
; COMPUTE_PGM_RSRC2:TIDIG_COMP_CNT: 2
	.section	.text._ZL19k_bin_bcast_unravelIXadL_ZL6op_addffEE6__halfffJPKfS2_S2_S2_S2_EEvPKT0_PKT1_PT2_15HIP_vector_typeIjLj3EESC_SC_jSC_SC_SC_SC_SC_SC_iiiiiiiiiiiDpT3_,"axG",@progbits,_ZL19k_bin_bcast_unravelIXadL_ZL6op_addffEE6__halfffJPKfS2_S2_S2_S2_EEvPKT0_PKT1_PT2_15HIP_vector_typeIjLj3EESC_SC_jSC_SC_SC_SC_SC_SC_iiiiiiiiiiiDpT3_,comdat
	.globl	_ZL19k_bin_bcast_unravelIXadL_ZL6op_addffEE6__halfffJPKfS2_S2_S2_S2_EEvPKT0_PKT1_PT2_15HIP_vector_typeIjLj3EESC_SC_jSC_SC_SC_SC_SC_SC_iiiiiiiiiiiDpT3_ ; -- Begin function _ZL19k_bin_bcast_unravelIXadL_ZL6op_addffEE6__halfffJPKfS2_S2_S2_S2_EEvPKT0_PKT1_PT2_15HIP_vector_typeIjLj3EESC_SC_jSC_SC_SC_SC_SC_SC_iiiiiiiiiiiDpT3_
	.p2align	8
	.type	_ZL19k_bin_bcast_unravelIXadL_ZL6op_addffEE6__halfffJPKfS2_S2_S2_S2_EEvPKT0_PKT1_PT2_15HIP_vector_typeIjLj3EESC_SC_jSC_SC_SC_SC_SC_SC_iiiiiiiiiiiDpT3_,@function
_ZL19k_bin_bcast_unravelIXadL_ZL6op_addffEE6__halfffJPKfS2_S2_S2_S2_EEvPKT0_PKT1_PT2_15HIP_vector_typeIjLj3EESC_SC_jSC_SC_SC_SC_SC_SC_iiiiiiiiiiiDpT3_: ; @_ZL19k_bin_bcast_unravelIXadL_ZL6op_addffEE6__halfffJPKfS2_S2_S2_S2_EEvPKT0_PKT1_PT2_15HIP_vector_typeIjLj3EESC_SC_jSC_SC_SC_SC_SC_SC_iiiiiiiiiiiDpT3_
; %bb.0:
	s_clause 0x1
	s_load_b32 s2, s[0:1], 0xec
	s_load_b256 s[4:11], s[0:1], 0x38
	s_waitcnt lgkmcnt(0)
	s_and_b32 s2, s2, 0xffff
	s_delay_alu instid0(SALU_CYCLE_1) | instskip(SKIP_3) | instid1(VALU_DEP_1)
	v_mad_u64_u32 v[2:3], null, s15, s2, v[0:1]
	s_clause 0x1
	s_load_b128 s[12:15], s[0:1], 0x18
	s_load_b32 s2, s[0:1], 0x2c
	v_mul_hi_u32 v0, v2, s6
	s_delay_alu instid0(VALU_DEP_1) | instskip(NEXT) | instid1(VALU_DEP_1)
	v_add_nc_u32_e32 v0, v2, v0
	v_lshrrev_b32_e32 v1, s7, v0
	s_delay_alu instid0(VALU_DEP_1) | instskip(NEXT) | instid1(VALU_DEP_1)
	v_mul_lo_u32 v0, v1, s8
	v_sub_nc_u32_e32 v0, v2, v0
	s_delay_alu instid0(VALU_DEP_1) | instskip(NEXT) | instid1(VALU_DEP_1)
	v_mul_hi_u32 v2, v0, s9
	v_add_nc_u32_e32 v2, v0, v2
	s_delay_alu instid0(VALU_DEP_1) | instskip(NEXT) | instid1(VALU_DEP_1)
	v_lshrrev_b32_e32 v2, s10, v2
	v_mul_lo_u32 v3, v2, s11
	v_cmp_gt_u32_e64 s3, s4, v2
	v_cmp_gt_u32_e64 s4, s5, v1
	s_delay_alu instid0(VALU_DEP_3) | instskip(SKIP_1) | instid1(VALU_DEP_1)
	v_sub_nc_u32_e32 v0, v0, v3
	s_waitcnt lgkmcnt(0)
	v_mul_hi_u32 v3, v0, s12
	s_delay_alu instid0(VALU_DEP_1) | instskip(NEXT) | instid1(VALU_DEP_1)
	v_add_nc_u32_e32 v3, v0, v3
	v_lshrrev_b32_e32 v3, s13, v3
	s_delay_alu instid0(VALU_DEP_1) | instskip(SKIP_1) | instid1(VALU_DEP_2)
	v_mul_lo_u32 v4, v3, s14
	v_cmp_gt_u32_e64 s2, s2, v3
	v_sub_nc_u32_e32 v0, v0, v4
	s_delay_alu instid0(VALU_DEP_1) | instskip(NEXT) | instid1(VALU_DEP_3)
	v_cmp_gt_u32_e32 vcc_lo, s14, v0
	s_and_b32 s2, vcc_lo, s2
	s_delay_alu instid0(SALU_CYCLE_1) | instskip(NEXT) | instid1(SALU_CYCLE_1)
	s_and_b32 s2, s2, s3
	s_and_b32 s2, s4, s2
	s_delay_alu instid0(SALU_CYCLE_1)
	s_and_saveexec_b32 s3, s2
	s_cbranch_execz .LBB70_5
; %bb.1:
	s_clause 0x4
	s_load_b64 s[2:3], s[0:1], 0x0
	s_load_b128 s[20:23], s[0:1], 0xa8
	s_load_b256 s[4:11], s[0:1], 0x88
	s_load_b128 s[24:27], s[0:1], 0x78
	s_load_b256 s[12:19], s[0:1], 0x58
	s_waitcnt lgkmcnt(0)
	s_cmp_eq_u64 s[2:3], 0
	s_cbranch_scc1 .LBB70_3
; %bb.2:
	v_mul_lo_u32 v4, v1, s10
	v_mul_lo_u32 v6, v2, s9
	;; [unrolled: 1-line block ×3, first 2 shown]
	v_mov_b32_e32 v5, 0
	s_delay_alu instid0(VALU_DEP_2) | instskip(NEXT) | instid1(VALU_DEP_1)
	v_add3_u32 v4, v6, v4, v7
	v_lshlrev_b64 v[6:7], 1, v[4:5]
	v_mul_lo_u32 v4, v0, s7
	s_delay_alu instid0(VALU_DEP_2) | instskip(NEXT) | instid1(VALU_DEP_3)
	v_add_co_u32 v6, vcc_lo, s2, v6
	v_add_co_ci_u32_e32 v7, vcc_lo, s3, v7, vcc_lo
	s_delay_alu instid0(VALU_DEP_3) | instskip(NEXT) | instid1(VALU_DEP_1)
	v_lshlrev_b64 v[4:5], 1, v[4:5]
	v_add_co_u32 v4, vcc_lo, v6, v4
	s_delay_alu instid0(VALU_DEP_2)
	v_add_co_ci_u32_e32 v5, vcc_lo, v7, v5, vcc_lo
	global_load_u16 v4, v[4:5], off
	s_waitcnt vmcnt(0)
	v_cvt_f32_f16_e32 v4, v4
	s_branch .LBB70_4
.LBB70_3:
	v_mov_b32_e32 v4, 0
.LBB70_4:
	v_mul_hi_u32 v5, s25, v1
	v_mul_hi_u32 v6, s18, v2
	;; [unrolled: 1-line block ×4, first 2 shown]
	s_load_b64 s[2:3], s[0:1], 0xd8
	s_delay_alu instid0(VALU_DEP_4) | instskip(NEXT) | instid1(VALU_DEP_4)
	v_add_nc_u32_e32 v5, v1, v5
	v_add_nc_u32_e32 v6, v2, v6
	s_delay_alu instid0(VALU_DEP_4) | instskip(NEXT) | instid1(VALU_DEP_4)
	v_add_nc_u32_e32 v7, v3, v7
	v_add_nc_u32_e32 v8, v0, v8
	s_delay_alu instid0(VALU_DEP_4) | instskip(NEXT) | instid1(VALU_DEP_4)
	v_lshrrev_b32_e32 v5, s26, v5
	v_lshrrev_b32_e32 v6, s19, v6
	s_delay_alu instid0(VALU_DEP_4) | instskip(NEXT) | instid1(VALU_DEP_4)
	v_lshrrev_b32_e32 v7, s16, v7
	v_lshrrev_b32_e32 v8, s13, v8
	s_delay_alu instid0(VALU_DEP_4) | instskip(NEXT) | instid1(VALU_DEP_4)
	v_mul_lo_u32 v5, v5, s27
	v_mul_lo_u32 v6, v6, s24
	s_delay_alu instid0(VALU_DEP_4) | instskip(NEXT) | instid1(VALU_DEP_4)
	v_mul_lo_u32 v7, v7, s17
	v_mul_lo_u32 v8, v8, s14
	s_delay_alu instid0(VALU_DEP_4) | instskip(NEXT) | instid1(VALU_DEP_4)
	v_sub_nc_u32_e32 v5, v1, v5
	v_sub_nc_u32_e32 v6, v2, v6
	s_delay_alu instid0(VALU_DEP_4) | instskip(NEXT) | instid1(VALU_DEP_4)
	v_sub_nc_u32_e32 v7, v3, v7
	v_sub_nc_u32_e32 v8, v0, v8
	v_mul_lo_u32 v1, v1, s6
	v_mul_lo_u32 v5, v5, s22
	v_mul_lo_u32 v6, v6, s21
	v_mul_lo_u32 v7, v7, s20
	v_mul_lo_u32 v8, v8, s11
	s_clause 0x1
	s_load_b256 s[8:15], s[0:1], 0xb8
	s_load_b64 s[0:1], s[0:1], 0x10
	v_mul_lo_u32 v2, v2, s5
	s_delay_alu instid0(VALU_DEP_3) | instskip(NEXT) | instid1(VALU_DEP_3)
	v_add3_u32 v5, v6, v5, v7
	v_ashrrev_i32_e32 v6, 31, v8
	s_delay_alu instid0(VALU_DEP_2) | instskip(SKIP_1) | instid1(VALU_DEP_2)
	v_ashrrev_i32_e32 v7, 31, v5
	v_add_co_u32 v5, vcc_lo, v8, v5
	v_add_co_ci_u32_e32 v6, vcc_lo, v6, v7, vcc_lo
	s_delay_alu instid0(VALU_DEP_1) | instskip(SKIP_1) | instid1(VALU_DEP_1)
	v_lshlrev_b64 v[5:6], 2, v[5:6]
	s_waitcnt lgkmcnt(0)
	v_add_co_u32 v7, vcc_lo, s8, v5
	s_delay_alu instid0(VALU_DEP_2)
	v_add_co_ci_u32_e32 v8, vcc_lo, s9, v6, vcc_lo
	v_add_co_u32 v9, vcc_lo, s10, v5
	v_add_co_ci_u32_e32 v10, vcc_lo, s11, v6, vcc_lo
	global_load_b32 v11, v[7:8], off
	v_add_co_u32 v7, vcc_lo, s12, v5
	v_add_co_ci_u32_e32 v8, vcc_lo, s13, v6, vcc_lo
	global_load_b32 v12, v[9:10], off
	v_add_co_u32 v9, vcc_lo, s14, v5
	v_add_co_ci_u32_e32 v10, vcc_lo, s15, v6, vcc_lo
	global_load_b32 v7, v[7:8], off
	v_add_co_u32 v5, vcc_lo, s2, v5
	v_add_co_ci_u32_e32 v6, vcc_lo, s3, v6, vcc_lo
	global_load_b32 v8, v[9:10], off
	global_load_b32 v5, v[5:6], off
	v_mul_lo_u32 v6, v3, s4
	v_mov_b32_e32 v3, 0
	s_delay_alu instid0(VALU_DEP_2) | instskip(NEXT) | instid1(VALU_DEP_2)
	v_add3_u32 v2, v2, v1, v6
	v_mov_b32_e32 v1, v3
	s_delay_alu instid0(VALU_DEP_2) | instskip(NEXT) | instid1(VALU_DEP_2)
	v_lshlrev_b64 v[2:3], 2, v[2:3]
	v_lshlrev_b64 v[0:1], 2, v[0:1]
	s_delay_alu instid0(VALU_DEP_2) | instskip(NEXT) | instid1(VALU_DEP_3)
	v_add_co_u32 v2, vcc_lo, s0, v2
	v_add_co_ci_u32_e32 v3, vcc_lo, s1, v3, vcc_lo
	s_delay_alu instid0(VALU_DEP_2) | instskip(NEXT) | instid1(VALU_DEP_2)
	v_add_co_u32 v0, vcc_lo, v2, v0
	v_add_co_ci_u32_e32 v1, vcc_lo, v3, v1, vcc_lo
	s_waitcnt vmcnt(4)
	v_add_f32_e32 v4, v4, v11
	s_waitcnt vmcnt(3)
	s_delay_alu instid0(VALU_DEP_1) | instskip(SKIP_1) | instid1(VALU_DEP_1)
	v_add_f32_e32 v4, v4, v12
	s_waitcnt vmcnt(2)
	v_add_f32_e32 v4, v4, v7
	s_waitcnt vmcnt(1)
	s_delay_alu instid0(VALU_DEP_1) | instskip(SKIP_1) | instid1(VALU_DEP_1)
	v_add_f32_e32 v4, v4, v8
	s_waitcnt vmcnt(0)
	v_add_f32_e32 v4, v4, v5
	global_store_b32 v[0:1], v4, off
.LBB70_5:
	s_nop 0
	s_sendmsg sendmsg(MSG_DEALLOC_VGPRS)
	s_endpgm
	.section	.rodata,"a",@progbits
	.p2align	6, 0x0
	.amdhsa_kernel _ZL19k_bin_bcast_unravelIXadL_ZL6op_addffEE6__halfffJPKfS2_S2_S2_S2_EEvPKT0_PKT1_PT2_15HIP_vector_typeIjLj3EESC_SC_jSC_SC_SC_SC_SC_SC_iiiiiiiiiiiDpT3_
		.amdhsa_group_segment_fixed_size 0
		.amdhsa_private_segment_fixed_size 0
		.amdhsa_kernarg_size 480
		.amdhsa_user_sgpr_count 15
		.amdhsa_user_sgpr_dispatch_ptr 0
		.amdhsa_user_sgpr_queue_ptr 0
		.amdhsa_user_sgpr_kernarg_segment_ptr 1
		.amdhsa_user_sgpr_dispatch_id 0
		.amdhsa_user_sgpr_private_segment_size 0
		.amdhsa_wavefront_size32 1
		.amdhsa_uses_dynamic_stack 0
		.amdhsa_enable_private_segment 0
		.amdhsa_system_sgpr_workgroup_id_x 1
		.amdhsa_system_sgpr_workgroup_id_y 0
		.amdhsa_system_sgpr_workgroup_id_z 0
		.amdhsa_system_sgpr_workgroup_info 0
		.amdhsa_system_vgpr_workitem_id 0
		.amdhsa_next_free_vgpr 13
		.amdhsa_next_free_sgpr 28
		.amdhsa_reserve_vcc 1
		.amdhsa_float_round_mode_32 0
		.amdhsa_float_round_mode_16_64 0
		.amdhsa_float_denorm_mode_32 3
		.amdhsa_float_denorm_mode_16_64 3
		.amdhsa_dx10_clamp 1
		.amdhsa_ieee_mode 1
		.amdhsa_fp16_overflow 0
		.amdhsa_workgroup_processor_mode 1
		.amdhsa_memory_ordered 1
		.amdhsa_forward_progress 0
		.amdhsa_shared_vgpr_count 0
		.amdhsa_exception_fp_ieee_invalid_op 0
		.amdhsa_exception_fp_denorm_src 0
		.amdhsa_exception_fp_ieee_div_zero 0
		.amdhsa_exception_fp_ieee_overflow 0
		.amdhsa_exception_fp_ieee_underflow 0
		.amdhsa_exception_fp_ieee_inexact 0
		.amdhsa_exception_int_div_zero 0
	.end_amdhsa_kernel
	.section	.text._ZL19k_bin_bcast_unravelIXadL_ZL6op_addffEE6__halfffJPKfS2_S2_S2_S2_EEvPKT0_PKT1_PT2_15HIP_vector_typeIjLj3EESC_SC_jSC_SC_SC_SC_SC_SC_iiiiiiiiiiiDpT3_,"axG",@progbits,_ZL19k_bin_bcast_unravelIXadL_ZL6op_addffEE6__halfffJPKfS2_S2_S2_S2_EEvPKT0_PKT1_PT2_15HIP_vector_typeIjLj3EESC_SC_jSC_SC_SC_SC_SC_SC_iiiiiiiiiiiDpT3_,comdat
.Lfunc_end70:
	.size	_ZL19k_bin_bcast_unravelIXadL_ZL6op_addffEE6__halfffJPKfS2_S2_S2_S2_EEvPKT0_PKT1_PT2_15HIP_vector_typeIjLj3EESC_SC_jSC_SC_SC_SC_SC_SC_iiiiiiiiiiiDpT3_, .Lfunc_end70-_ZL19k_bin_bcast_unravelIXadL_ZL6op_addffEE6__halfffJPKfS2_S2_S2_S2_EEvPKT0_PKT1_PT2_15HIP_vector_typeIjLj3EESC_SC_jSC_SC_SC_SC_SC_SC_iiiiiiiiiiiDpT3_
                                        ; -- End function
	.section	.AMDGPU.csdata,"",@progbits
; Kernel info:
; codeLenInByte = 944
; NumSgprs: 30
; NumVgprs: 13
; ScratchSize: 0
; MemoryBound: 0
; FloatMode: 240
; IeeeMode: 1
; LDSByteSize: 0 bytes/workgroup (compile time only)
; SGPRBlocks: 3
; VGPRBlocks: 1
; NumSGPRsForWavesPerEU: 30
; NumVGPRsForWavesPerEU: 13
; Occupancy: 16
; WaveLimiterHint : 1
; COMPUTE_PGM_RSRC2:SCRATCH_EN: 0
; COMPUTE_PGM_RSRC2:USER_SGPR: 15
; COMPUTE_PGM_RSRC2:TRAP_HANDLER: 0
; COMPUTE_PGM_RSRC2:TGID_X_EN: 1
; COMPUTE_PGM_RSRC2:TGID_Y_EN: 0
; COMPUTE_PGM_RSRC2:TGID_Z_EN: 0
; COMPUTE_PGM_RSRC2:TIDIG_COMP_CNT: 0
	.section	.text._ZL11k_bin_bcastIXadL_ZL6op_addffEE6__halfffJPKfS2_S2_S2_S2_EEvPKT0_PKT1_PT2_iii15HIP_vector_typeIjLj3EESC_SC_SC_SC_iiiiiiiiiiiDpT3_,"axG",@progbits,_ZL11k_bin_bcastIXadL_ZL6op_addffEE6__halfffJPKfS2_S2_S2_S2_EEvPKT0_PKT1_PT2_iii15HIP_vector_typeIjLj3EESC_SC_SC_SC_iiiiiiiiiiiDpT3_,comdat
	.globl	_ZL11k_bin_bcastIXadL_ZL6op_addffEE6__halfffJPKfS2_S2_S2_S2_EEvPKT0_PKT1_PT2_iii15HIP_vector_typeIjLj3EESC_SC_SC_SC_iiiiiiiiiiiDpT3_ ; -- Begin function _ZL11k_bin_bcastIXadL_ZL6op_addffEE6__halfffJPKfS2_S2_S2_S2_EEvPKT0_PKT1_PT2_iii15HIP_vector_typeIjLj3EESC_SC_SC_SC_iiiiiiiiiiiDpT3_
	.p2align	8
	.type	_ZL11k_bin_bcastIXadL_ZL6op_addffEE6__halfffJPKfS2_S2_S2_S2_EEvPKT0_PKT1_PT2_iii15HIP_vector_typeIjLj3EESC_SC_SC_SC_iiiiiiiiiiiDpT3_,@function
_ZL11k_bin_bcastIXadL_ZL6op_addffEE6__halfffJPKfS2_S2_S2_S2_EEvPKT0_PKT1_PT2_iii15HIP_vector_typeIjLj3EESC_SC_SC_SC_iiiiiiiiiiiDpT3_: ; @_ZL11k_bin_bcastIXadL_ZL6op_addffEE6__halfffJPKfS2_S2_S2_S2_EEvPKT0_PKT1_PT2_iii15HIP_vector_typeIjLj3EESC_SC_SC_SC_iiiiiiiiiiiDpT3_
; %bb.0:
	s_clause 0x1
	s_load_b64 s[2:3], s[0:1], 0xc4
	s_load_b256 s[16:23], s[0:1], 0x18
	v_bfe_u32 v1, v0, 20, 10
	s_add_u32 s34, s0, 0xb8
	s_addc_u32 s35, s1, 0
	s_waitcnt lgkmcnt(0)
	s_and_b32 s3, s3, 0xffff
	s_delay_alu instid0(SALU_CYCLE_1) | instskip(SKIP_3) | instid1(VALU_DEP_3)
	v_mad_u64_u32 v[4:5], null, s15, s3, v[1:2]
	v_and_b32_e32 v2, 0x3ff, v0
	v_bfe_u32 v5, v0, 10, 10
	s_lshr_b32 s3, s2, 16
	v_mul_hi_u32 v1, v4, s19
	s_delay_alu instid0(VALU_DEP_1) | instskip(NEXT) | instid1(VALU_DEP_1)
	v_add_nc_u32_e32 v1, v4, v1
	v_lshrrev_b32_e32 v3, s20, v1
	s_and_b32 s20, s2, 0xffff
	s_delay_alu instid0(VALU_DEP_1) | instskip(SKIP_1) | instid1(VALU_DEP_2)
	v_mul_lo_u32 v6, v3, s21
	v_mad_u64_u32 v[0:1], null, s13, s20, v[2:3]
	v_mad_u64_u32 v[1:2], null, s14, s3, v[5:6]
	v_sub_nc_u32_e32 v4, v4, v6
	s_delay_alu instid0(VALU_DEP_3) | instskip(SKIP_1) | instid1(VALU_DEP_3)
	v_cmp_gt_u32_e32 vcc_lo, s16, v0
	v_cmp_gt_u32_e64 s3, s18, v3
	v_cmp_gt_u32_e64 s4, s21, v4
	v_cmp_gt_u32_e64 s2, s17, v1
	s_delay_alu instid0(VALU_DEP_1)
	s_and_b32 s2, vcc_lo, s2
	s_delay_alu instid0(VALU_DEP_3) | instid1(SALU_CYCLE_1)
	s_and_b32 s2, s2, s3
	s_delay_alu instid0(VALU_DEP_2) | instid1(SALU_CYCLE_1)
	s_and_b32 s2, s2, s4
	s_delay_alu instid0(SALU_CYCLE_1)
	s_and_saveexec_b32 s3, s2
	s_cbranch_execz .LBB71_6
; %bb.1:
	v_cmp_gt_i32_e32 vcc_lo, s16, v0
	s_and_b32 exec_lo, exec_lo, vcc_lo
	s_cbranch_execz .LBB71_6
; %bb.2:
	s_clause 0x2
	s_load_b256 s[24:31], s[0:1], 0x3c
	s_load_b256 s[4:11], s[0:1], 0x60
	s_load_b128 s[12:15], s[0:1], 0x80
	s_waitcnt lgkmcnt(0)
	s_load_b32 s15, s[34:35], 0x0
	s_clause 0x4
	s_load_b32 s17, s[0:1], 0x5c
	s_load_b64 s[34:35], s[0:1], 0x0
	s_load_b32 s21, s[0:1], 0x38
	s_load_b64 s[18:19], s[0:1], 0x10
	s_load_b64 s[2:3], s[0:1], 0xb0
	v_mul_hi_u32 v2, s24, v1
	v_mul_hi_u32 v5, s27, v3
	;; [unrolled: 1-line block ×3, first 2 shown]
	v_mul_lo_u32 v9, v4, s10
	v_mul_lo_u32 v10, v3, s9
	;; [unrolled: 1-line block ×3, first 2 shown]
	v_mov_b32_e32 v6, 0
	v_mul_lo_u32 v12, v4, s6
	v_add_nc_u32_e32 v2, v1, v2
	v_add_nc_u32_e32 v5, v3, v5
	s_delay_alu instid0(VALU_DEP_4) | instskip(SKIP_1) | instid1(VALU_DEP_4)
	v_dual_mov_b32 v8, v6 :: v_dual_add_nc_u32 v7, v4, v7
	v_mul_lo_u32 v13, v3, s5
	v_lshrrev_b32_e32 v2, s25, v2
	s_delay_alu instid0(VALU_DEP_4) | instskip(NEXT) | instid1(VALU_DEP_4)
	v_lshrrev_b32_e32 v15, s28, v5
	v_lshrrev_b32_e32 v16, s31, v7
	v_add3_u32 v5, v10, v11, v9
	v_mul_lo_u32 v14, v1, s4
	v_mul_lo_u32 v9, v2, s26
	;; [unrolled: 1-line block ×3, first 2 shown]
	s_waitcnt lgkmcnt(0)
	v_mul_lo_u32 v11, v16, s17
	v_lshlrev_b64 v[5:6], 1, v[5:6]
	s_load_b256 s[24:31], s[0:1], 0x90
	s_cmp_lg_u64 s[34:35], 0
	v_mul_lo_u32 v2, s7, v0
	v_add3_u32 v7, v13, v14, v12
	v_sub_nc_u32_e32 v1, v1, v9
	v_sub_nc_u32_e32 v3, v3, v10
	;; [unrolled: 1-line block ×3, first 2 shown]
	v_add_co_u32 v9, vcc_lo, s34, v5
	v_add_co_ci_u32_e32 v5, vcc_lo, s35, v6, vcc_lo
	v_lshlrev_b64 v[7:8], 2, v[7:8]
	s_delay_alu instid0(VALU_DEP_4)
	v_mul_lo_u32 v10, v4, s14
	v_mul_lo_u32 v3, v3, s13
	;; [unrolled: 1-line block ×3, first 2 shown]
	s_cselect_b32 vcc_lo, -1, 0
	s_mul_i32 s4, s15, s20
	v_cndmask_b32_e32 v5, 0, v5, vcc_lo
	v_cndmask_b32_e32 v4, 0, v9, vcc_lo
	v_add_co_u32 v6, vcc_lo, s18, v7
	v_add_co_ci_u32_e32 v7, vcc_lo, s19, v8, vcc_lo
	s_delay_alu instid0(VALU_DEP_3)
	v_cmp_ne_u64_e32 vcc_lo, 0, v[4:5]
	v_add3_u32 v8, v3, v10, v1
	s_mov_b32 s5, 0
	s_mul_i32 s6, s4, s7
	s_sub_i32 s7, 0, s21
	s_branch .LBB71_4
.LBB71_3:                               ;   in Loop: Header=BB71_4 Depth=1
	s_or_b32 exec_lo, exec_lo, s1
	v_mul_hi_u32 v3, s22, v0
	v_add_nc_u32_e32 v2, s6, v2
	s_delay_alu instid0(VALU_DEP_2) | instskip(NEXT) | instid1(VALU_DEP_1)
	v_add_nc_u32_e32 v3, v0, v3
	v_lshrrev_b32_e32 v3, s23, v3
	s_delay_alu instid0(VALU_DEP_1) | instskip(NEXT) | instid1(VALU_DEP_1)
	v_mad_u64_u32 v[9:10], null, s7, v3, v[0:1]
	v_mul_lo_u32 v3, v9, s11
	s_delay_alu instid0(VALU_DEP_1) | instskip(NEXT) | instid1(VALU_DEP_1)
	v_add_co_u32 v9, s0, v3, v8
	v_add_co_ci_u32_e64 v10, null, 0, 0, s0
	s_delay_alu instid0(VALU_DEP_1) | instskip(SKIP_1) | instid1(VALU_DEP_1)
	v_lshlrev_b64 v[9:10], 2, v[9:10]
	s_waitcnt lgkmcnt(0)
	v_add_co_u32 v11, s0, s24, v9
	s_delay_alu instid0(VALU_DEP_1) | instskip(SKIP_1) | instid1(VALU_DEP_1)
	v_add_co_ci_u32_e64 v12, s0, s25, v10, s0
	v_add_co_u32 v13, s0, s26, v9
	v_add_co_ci_u32_e64 v14, s0, s27, v10, s0
	global_load_b32 v3, v[11:12], off
	v_add_co_u32 v11, s0, s28, v9
	s_delay_alu instid0(VALU_DEP_1) | instskip(SKIP_2) | instid1(VALU_DEP_1)
	v_add_co_ci_u32_e64 v12, s0, s29, v10, s0
	global_load_b32 v15, v[13:14], off
	v_add_co_u32 v13, s0, s30, v9
	v_add_co_ci_u32_e64 v14, s0, s31, v10, s0
	global_load_b32 v11, v[11:12], off
	v_add_co_u32 v9, s0, s2, v9
	s_delay_alu instid0(VALU_DEP_1)
	v_add_co_ci_u32_e64 v10, s0, s3, v10, s0
	global_load_b32 v12, v[13:14], off
	global_load_b32 v13, v[9:10], off
	s_waitcnt vmcnt(4)
	v_add_f32_e32 v1, v1, v3
	s_waitcnt vmcnt(3)
	s_delay_alu instid0(VALU_DEP_1) | instskip(SKIP_2) | instid1(VALU_DEP_2)
	v_add_f32_e32 v3, v1, v15
	v_ashrrev_i32_e32 v1, 31, v0
	s_waitcnt vmcnt(2)
	v_add_f32_e32 v3, v3, v11
	s_delay_alu instid0(VALU_DEP_2) | instskip(SKIP_2) | instid1(VALU_DEP_3)
	v_lshlrev_b64 v[9:10], 2, v[0:1]
	v_add_nc_u32_e32 v0, s4, v0
	s_waitcnt vmcnt(1)
	v_add_f32_e32 v1, v3, v12
	s_delay_alu instid0(VALU_DEP_2) | instskip(NEXT) | instid1(VALU_DEP_4)
	v_cmp_le_i32_e64 s0, s16, v0
	v_add_co_u32 v9, s1, v6, v9
	s_delay_alu instid0(VALU_DEP_1)
	v_add_co_ci_u32_e64 v10, s1, v7, v10, s1
	s_waitcnt vmcnt(0)
	v_add_f32_e32 v1, v1, v13
	s_or_b32 s5, s0, s5
	global_store_b32 v[9:10], v1, off
	s_and_not1_b32 exec_lo, exec_lo, s5
	s_cbranch_execz .LBB71_6
.LBB71_4:                               ; =>This Inner Loop Header: Depth=1
	v_mov_b32_e32 v1, 0
	s_and_saveexec_b32 s1, vcc_lo
	s_cbranch_execz .LBB71_3
; %bb.5:                                ;   in Loop: Header=BB71_4 Depth=1
	v_ashrrev_i32_e32 v3, 31, v2
	s_delay_alu instid0(VALU_DEP_1) | instskip(NEXT) | instid1(VALU_DEP_1)
	v_lshlrev_b64 v[9:10], 1, v[2:3]
	v_add_co_u32 v9, s0, v4, v9
	s_delay_alu instid0(VALU_DEP_1)
	v_add_co_ci_u32_e64 v10, s0, v5, v10, s0
	global_load_u16 v1, v[9:10], off
	s_waitcnt vmcnt(0)
	v_cvt_f32_f16_e32 v1, v1
	s_branch .LBB71_3
.LBB71_6:
	s_nop 0
	s_sendmsg sendmsg(MSG_DEALLOC_VGPRS)
	s_endpgm
	.section	.rodata,"a",@progbits
	.p2align	6, 0x0
	.amdhsa_kernel _ZL11k_bin_bcastIXadL_ZL6op_addffEE6__halfffJPKfS2_S2_S2_S2_EEvPKT0_PKT1_PT2_iii15HIP_vector_typeIjLj3EESC_SC_SC_SC_iiiiiiiiiiiDpT3_
		.amdhsa_group_segment_fixed_size 0
		.amdhsa_private_segment_fixed_size 0
		.amdhsa_kernarg_size 440
		.amdhsa_user_sgpr_count 13
		.amdhsa_user_sgpr_dispatch_ptr 0
		.amdhsa_user_sgpr_queue_ptr 0
		.amdhsa_user_sgpr_kernarg_segment_ptr 1
		.amdhsa_user_sgpr_dispatch_id 0
		.amdhsa_user_sgpr_private_segment_size 0
		.amdhsa_wavefront_size32 1
		.amdhsa_uses_dynamic_stack 0
		.amdhsa_enable_private_segment 0
		.amdhsa_system_sgpr_workgroup_id_x 1
		.amdhsa_system_sgpr_workgroup_id_y 1
		.amdhsa_system_sgpr_workgroup_id_z 1
		.amdhsa_system_sgpr_workgroup_info 0
		.amdhsa_system_vgpr_workitem_id 2
		.amdhsa_next_free_vgpr 17
		.amdhsa_next_free_sgpr 36
		.amdhsa_reserve_vcc 1
		.amdhsa_float_round_mode_32 0
		.amdhsa_float_round_mode_16_64 0
		.amdhsa_float_denorm_mode_32 3
		.amdhsa_float_denorm_mode_16_64 3
		.amdhsa_dx10_clamp 1
		.amdhsa_ieee_mode 1
		.amdhsa_fp16_overflow 0
		.amdhsa_workgroup_processor_mode 1
		.amdhsa_memory_ordered 1
		.amdhsa_forward_progress 0
		.amdhsa_shared_vgpr_count 0
		.amdhsa_exception_fp_ieee_invalid_op 0
		.amdhsa_exception_fp_denorm_src 0
		.amdhsa_exception_fp_ieee_div_zero 0
		.amdhsa_exception_fp_ieee_overflow 0
		.amdhsa_exception_fp_ieee_underflow 0
		.amdhsa_exception_fp_ieee_inexact 0
		.amdhsa_exception_int_div_zero 0
	.end_amdhsa_kernel
	.section	.text._ZL11k_bin_bcastIXadL_ZL6op_addffEE6__halfffJPKfS2_S2_S2_S2_EEvPKT0_PKT1_PT2_iii15HIP_vector_typeIjLj3EESC_SC_SC_SC_iiiiiiiiiiiDpT3_,"axG",@progbits,_ZL11k_bin_bcastIXadL_ZL6op_addffEE6__halfffJPKfS2_S2_S2_S2_EEvPKT0_PKT1_PT2_iii15HIP_vector_typeIjLj3EESC_SC_SC_SC_iiiiiiiiiiiDpT3_,comdat
.Lfunc_end71:
	.size	_ZL11k_bin_bcastIXadL_ZL6op_addffEE6__halfffJPKfS2_S2_S2_S2_EEvPKT0_PKT1_PT2_iii15HIP_vector_typeIjLj3EESC_SC_SC_SC_iiiiiiiiiiiDpT3_, .Lfunc_end71-_ZL11k_bin_bcastIXadL_ZL6op_addffEE6__halfffJPKfS2_S2_S2_S2_EEvPKT0_PKT1_PT2_iii15HIP_vector_typeIjLj3EESC_SC_SC_SC_iiiiiiiiiiiDpT3_
                                        ; -- End function
	.section	.AMDGPU.csdata,"",@progbits
; Kernel info:
; codeLenInByte = 1024
; NumSgprs: 38
; NumVgprs: 17
; ScratchSize: 0
; MemoryBound: 0
; FloatMode: 240
; IeeeMode: 1
; LDSByteSize: 0 bytes/workgroup (compile time only)
; SGPRBlocks: 4
; VGPRBlocks: 2
; NumSGPRsForWavesPerEU: 38
; NumVGPRsForWavesPerEU: 17
; Occupancy: 16
; WaveLimiterHint : 1
; COMPUTE_PGM_RSRC2:SCRATCH_EN: 0
; COMPUTE_PGM_RSRC2:USER_SGPR: 13
; COMPUTE_PGM_RSRC2:TRAP_HANDLER: 0
; COMPUTE_PGM_RSRC2:TGID_X_EN: 1
; COMPUTE_PGM_RSRC2:TGID_Y_EN: 1
; COMPUTE_PGM_RSRC2:TGID_Z_EN: 1
; COMPUTE_PGM_RSRC2:TIDIG_COMP_CNT: 2
	.section	.text._ZL19k_bin_bcast_unravelIXadL_ZL6op_addffEEfffJPKfS1_S1_S1_S1_S1_EEvPKT0_PKT1_PT2_15HIP_vector_typeIjLj3EESB_SB_jSB_SB_SB_SB_SB_SB_iiiiiiiiiiiDpT3_,"axG",@progbits,_ZL19k_bin_bcast_unravelIXadL_ZL6op_addffEEfffJPKfS1_S1_S1_S1_S1_EEvPKT0_PKT1_PT2_15HIP_vector_typeIjLj3EESB_SB_jSB_SB_SB_SB_SB_SB_iiiiiiiiiiiDpT3_,comdat
	.globl	_ZL19k_bin_bcast_unravelIXadL_ZL6op_addffEEfffJPKfS1_S1_S1_S1_S1_EEvPKT0_PKT1_PT2_15HIP_vector_typeIjLj3EESB_SB_jSB_SB_SB_SB_SB_SB_iiiiiiiiiiiDpT3_ ; -- Begin function _ZL19k_bin_bcast_unravelIXadL_ZL6op_addffEEfffJPKfS1_S1_S1_S1_S1_EEvPKT0_PKT1_PT2_15HIP_vector_typeIjLj3EESB_SB_jSB_SB_SB_SB_SB_SB_iiiiiiiiiiiDpT3_
	.p2align	8
	.type	_ZL19k_bin_bcast_unravelIXadL_ZL6op_addffEEfffJPKfS1_S1_S1_S1_S1_EEvPKT0_PKT1_PT2_15HIP_vector_typeIjLj3EESB_SB_jSB_SB_SB_SB_SB_SB_iiiiiiiiiiiDpT3_,@function
_ZL19k_bin_bcast_unravelIXadL_ZL6op_addffEEfffJPKfS1_S1_S1_S1_S1_EEvPKT0_PKT1_PT2_15HIP_vector_typeIjLj3EESB_SB_jSB_SB_SB_SB_SB_SB_iiiiiiiiiiiDpT3_: ; @_ZL19k_bin_bcast_unravelIXadL_ZL6op_addffEEfffJPKfS1_S1_S1_S1_S1_EEvPKT0_PKT1_PT2_15HIP_vector_typeIjLj3EESB_SB_jSB_SB_SB_SB_SB_SB_iiiiiiiiiiiDpT3_
; %bb.0:
	s_clause 0x1
	s_load_b32 s2, s[0:1], 0xf4
	s_load_b256 s[4:11], s[0:1], 0x38
	s_waitcnt lgkmcnt(0)
	s_and_b32 s2, s2, 0xffff
	s_delay_alu instid0(SALU_CYCLE_1) | instskip(SKIP_3) | instid1(VALU_DEP_1)
	v_mad_u64_u32 v[2:3], null, s15, s2, v[0:1]
	s_clause 0x1
	s_load_b128 s[12:15], s[0:1], 0x18
	s_load_b32 s2, s[0:1], 0x2c
	v_mul_hi_u32 v0, v2, s6
	s_delay_alu instid0(VALU_DEP_1) | instskip(NEXT) | instid1(VALU_DEP_1)
	v_add_nc_u32_e32 v0, v2, v0
	v_lshrrev_b32_e32 v1, s7, v0
	s_delay_alu instid0(VALU_DEP_1) | instskip(NEXT) | instid1(VALU_DEP_1)
	v_mul_lo_u32 v0, v1, s8
	v_sub_nc_u32_e32 v0, v2, v0
	s_delay_alu instid0(VALU_DEP_1) | instskip(NEXT) | instid1(VALU_DEP_1)
	v_mul_hi_u32 v2, v0, s9
	v_add_nc_u32_e32 v2, v0, v2
	s_delay_alu instid0(VALU_DEP_1) | instskip(NEXT) | instid1(VALU_DEP_1)
	v_lshrrev_b32_e32 v2, s10, v2
	v_mul_lo_u32 v3, v2, s11
	v_cmp_gt_u32_e64 s3, s4, v2
	v_cmp_gt_u32_e64 s4, s5, v1
	s_delay_alu instid0(VALU_DEP_3) | instskip(SKIP_1) | instid1(VALU_DEP_1)
	v_sub_nc_u32_e32 v0, v0, v3
	s_waitcnt lgkmcnt(0)
	v_mul_hi_u32 v3, v0, s12
	s_delay_alu instid0(VALU_DEP_1) | instskip(NEXT) | instid1(VALU_DEP_1)
	v_add_nc_u32_e32 v3, v0, v3
	v_lshrrev_b32_e32 v3, s13, v3
	s_delay_alu instid0(VALU_DEP_1) | instskip(SKIP_1) | instid1(VALU_DEP_2)
	v_mul_lo_u32 v4, v3, s14
	v_cmp_gt_u32_e64 s2, s2, v3
	v_sub_nc_u32_e32 v0, v0, v4
	s_delay_alu instid0(VALU_DEP_1) | instskip(NEXT) | instid1(VALU_DEP_3)
	v_cmp_gt_u32_e32 vcc_lo, s14, v0
	s_and_b32 s2, vcc_lo, s2
	s_delay_alu instid0(SALU_CYCLE_1) | instskip(NEXT) | instid1(SALU_CYCLE_1)
	s_and_b32 s2, s2, s3
	s_and_b32 s2, s4, s2
	s_delay_alu instid0(SALU_CYCLE_1)
	s_and_saveexec_b32 s3, s2
	s_cbranch_execz .LBB72_5
; %bb.1:
	s_clause 0x4
	s_load_b64 s[2:3], s[0:1], 0x0
	s_load_b128 s[20:23], s[0:1], 0xa8
	s_load_b256 s[4:11], s[0:1], 0x88
	s_load_b128 s[24:27], s[0:1], 0x78
	s_load_b256 s[12:19], s[0:1], 0x58
	s_waitcnt lgkmcnt(0)
	s_cmp_eq_u64 s[2:3], 0
	s_cbranch_scc1 .LBB72_3
; %bb.2:
	v_mul_lo_u32 v4, v1, s10
	v_mul_lo_u32 v6, v2, s9
	;; [unrolled: 1-line block ×3, first 2 shown]
	v_mov_b32_e32 v5, 0
	s_delay_alu instid0(VALU_DEP_2) | instskip(NEXT) | instid1(VALU_DEP_1)
	v_add3_u32 v4, v6, v4, v7
	v_lshlrev_b64 v[6:7], 2, v[4:5]
	v_mul_lo_u32 v4, v0, s7
	s_delay_alu instid0(VALU_DEP_2) | instskip(NEXT) | instid1(VALU_DEP_3)
	v_add_co_u32 v6, vcc_lo, s2, v6
	v_add_co_ci_u32_e32 v7, vcc_lo, s3, v7, vcc_lo
	s_delay_alu instid0(VALU_DEP_3) | instskip(NEXT) | instid1(VALU_DEP_1)
	v_lshlrev_b64 v[4:5], 2, v[4:5]
	v_add_co_u32 v4, vcc_lo, v6, v4
	s_delay_alu instid0(VALU_DEP_2)
	v_add_co_ci_u32_e32 v5, vcc_lo, v7, v5, vcc_lo
	global_load_b32 v4, v[4:5], off
	s_branch .LBB72_4
.LBB72_3:
	v_mov_b32_e32 v4, 0
.LBB72_4:
	v_mul_hi_u32 v5, s25, v1
	v_mul_hi_u32 v6, s18, v2
	v_mul_hi_u32 v7, s15, v3
	v_mul_hi_u32 v8, s12, v0
	s_delay_alu instid0(VALU_DEP_4) | instskip(NEXT) | instid1(VALU_DEP_4)
	v_add_nc_u32_e32 v5, v1, v5
	v_add_nc_u32_e32 v6, v2, v6
	s_delay_alu instid0(VALU_DEP_4) | instskip(NEXT) | instid1(VALU_DEP_4)
	v_add_nc_u32_e32 v7, v3, v7
	v_add_nc_u32_e32 v8, v0, v8
	s_delay_alu instid0(VALU_DEP_4) | instskip(NEXT) | instid1(VALU_DEP_4)
	v_lshrrev_b32_e32 v5, s26, v5
	v_lshrrev_b32_e32 v6, s19, v6
	s_delay_alu instid0(VALU_DEP_4) | instskip(NEXT) | instid1(VALU_DEP_4)
	v_lshrrev_b32_e32 v7, s16, v7
	v_lshrrev_b32_e32 v8, s13, v8
	s_delay_alu instid0(VALU_DEP_4) | instskip(NEXT) | instid1(VALU_DEP_4)
	v_mul_lo_u32 v5, v5, s27
	v_mul_lo_u32 v6, v6, s24
	s_delay_alu instid0(VALU_DEP_4) | instskip(NEXT) | instid1(VALU_DEP_4)
	v_mul_lo_u32 v7, v7, s17
	v_mul_lo_u32 v8, v8, s14
	s_load_b128 s[16:19], s[0:1], 0xd8
	s_delay_alu instid0(VALU_DEP_4) | instskip(NEXT) | instid1(VALU_DEP_4)
	v_sub_nc_u32_e32 v5, v1, v5
	v_sub_nc_u32_e32 v6, v2, v6
	s_delay_alu instid0(VALU_DEP_4) | instskip(NEXT) | instid1(VALU_DEP_4)
	v_sub_nc_u32_e32 v7, v3, v7
	v_sub_nc_u32_e32 v8, v0, v8
	v_mul_lo_u32 v1, v1, s6
	v_mul_lo_u32 v5, v5, s22
	;; [unrolled: 1-line block ×5, first 2 shown]
	s_clause 0x1
	s_load_b256 s[8:15], s[0:1], 0xb8
	s_load_b64 s[0:1], s[0:1], 0x10
	v_mul_lo_u32 v2, v2, s5
	s_delay_alu instid0(VALU_DEP_3) | instskip(NEXT) | instid1(VALU_DEP_3)
	v_add3_u32 v5, v6, v5, v7
	v_ashrrev_i32_e32 v6, 31, v8
	s_delay_alu instid0(VALU_DEP_2) | instskip(SKIP_1) | instid1(VALU_DEP_2)
	v_ashrrev_i32_e32 v7, 31, v5
	v_add_co_u32 v5, vcc_lo, v8, v5
	v_add_co_ci_u32_e32 v6, vcc_lo, v6, v7, vcc_lo
	s_delay_alu instid0(VALU_DEP_1) | instskip(SKIP_1) | instid1(VALU_DEP_1)
	v_lshlrev_b64 v[5:6], 2, v[5:6]
	s_waitcnt lgkmcnt(0)
	v_add_co_u32 v7, vcc_lo, s8, v5
	s_delay_alu instid0(VALU_DEP_2)
	v_add_co_ci_u32_e32 v8, vcc_lo, s9, v6, vcc_lo
	v_add_co_u32 v9, vcc_lo, s10, v5
	v_add_co_ci_u32_e32 v10, vcc_lo, s11, v6, vcc_lo
	global_load_b32 v11, v[7:8], off
	v_add_co_u32 v7, vcc_lo, s12, v5
	v_add_co_ci_u32_e32 v8, vcc_lo, s13, v6, vcc_lo
	global_load_b32 v12, v[9:10], off
	;; [unrolled: 3-line block ×5, first 2 shown]
	global_load_b32 v5, v[5:6], off
	v_mul_lo_u32 v6, v3, s4
	v_mov_b32_e32 v3, 0
	s_delay_alu instid0(VALU_DEP_2) | instskip(NEXT) | instid1(VALU_DEP_2)
	v_add3_u32 v2, v2, v1, v6
	v_mov_b32_e32 v1, v3
	s_delay_alu instid0(VALU_DEP_2) | instskip(NEXT) | instid1(VALU_DEP_2)
	v_lshlrev_b64 v[2:3], 2, v[2:3]
	v_lshlrev_b64 v[0:1], 2, v[0:1]
	s_delay_alu instid0(VALU_DEP_2) | instskip(NEXT) | instid1(VALU_DEP_3)
	v_add_co_u32 v2, vcc_lo, s0, v2
	v_add_co_ci_u32_e32 v3, vcc_lo, s1, v3, vcc_lo
	s_delay_alu instid0(VALU_DEP_2) | instskip(NEXT) | instid1(VALU_DEP_2)
	v_add_co_u32 v0, vcc_lo, v2, v0
	v_add_co_ci_u32_e32 v1, vcc_lo, v3, v1, vcc_lo
	s_waitcnt vmcnt(5)
	v_add_f32_e32 v4, v4, v11
	s_waitcnt vmcnt(4)
	s_delay_alu instid0(VALU_DEP_1) | instskip(SKIP_1) | instid1(VALU_DEP_1)
	v_add_f32_e32 v4, v4, v12
	s_waitcnt vmcnt(3)
	v_add_f32_e32 v4, v4, v13
	s_waitcnt vmcnt(2)
	s_delay_alu instid0(VALU_DEP_1) | instskip(SKIP_1) | instid1(VALU_DEP_1)
	v_add_f32_e32 v4, v4, v9
	s_waitcnt vmcnt(1)
	v_add_f32_e32 v4, v4, v7
	s_waitcnt vmcnt(0)
	s_delay_alu instid0(VALU_DEP_1)
	v_add_f32_e32 v4, v4, v5
	global_store_b32 v[0:1], v4, off
.LBB72_5:
	s_nop 0
	s_sendmsg sendmsg(MSG_DEALLOC_VGPRS)
	s_endpgm
	.section	.rodata,"a",@progbits
	.p2align	6, 0x0
	.amdhsa_kernel _ZL19k_bin_bcast_unravelIXadL_ZL6op_addffEEfffJPKfS1_S1_S1_S1_S1_EEvPKT0_PKT1_PT2_15HIP_vector_typeIjLj3EESB_SB_jSB_SB_SB_SB_SB_SB_iiiiiiiiiiiDpT3_
		.amdhsa_group_segment_fixed_size 0
		.amdhsa_private_segment_fixed_size 0
		.amdhsa_kernarg_size 488
		.amdhsa_user_sgpr_count 15
		.amdhsa_user_sgpr_dispatch_ptr 0
		.amdhsa_user_sgpr_queue_ptr 0
		.amdhsa_user_sgpr_kernarg_segment_ptr 1
		.amdhsa_user_sgpr_dispatch_id 0
		.amdhsa_user_sgpr_private_segment_size 0
		.amdhsa_wavefront_size32 1
		.amdhsa_uses_dynamic_stack 0
		.amdhsa_enable_private_segment 0
		.amdhsa_system_sgpr_workgroup_id_x 1
		.amdhsa_system_sgpr_workgroup_id_y 0
		.amdhsa_system_sgpr_workgroup_id_z 0
		.amdhsa_system_sgpr_workgroup_info 0
		.amdhsa_system_vgpr_workitem_id 0
		.amdhsa_next_free_vgpr 14
		.amdhsa_next_free_sgpr 28
		.amdhsa_reserve_vcc 1
		.amdhsa_float_round_mode_32 0
		.amdhsa_float_round_mode_16_64 0
		.amdhsa_float_denorm_mode_32 3
		.amdhsa_float_denorm_mode_16_64 3
		.amdhsa_dx10_clamp 1
		.amdhsa_ieee_mode 1
		.amdhsa_fp16_overflow 0
		.amdhsa_workgroup_processor_mode 1
		.amdhsa_memory_ordered 1
		.amdhsa_forward_progress 0
		.amdhsa_shared_vgpr_count 0
		.amdhsa_exception_fp_ieee_invalid_op 0
		.amdhsa_exception_fp_denorm_src 0
		.amdhsa_exception_fp_ieee_div_zero 0
		.amdhsa_exception_fp_ieee_overflow 0
		.amdhsa_exception_fp_ieee_underflow 0
		.amdhsa_exception_fp_ieee_inexact 0
		.amdhsa_exception_int_div_zero 0
	.end_amdhsa_kernel
	.section	.text._ZL19k_bin_bcast_unravelIXadL_ZL6op_addffEEfffJPKfS1_S1_S1_S1_S1_EEvPKT0_PKT1_PT2_15HIP_vector_typeIjLj3EESB_SB_jSB_SB_SB_SB_SB_SB_iiiiiiiiiiiDpT3_,"axG",@progbits,_ZL19k_bin_bcast_unravelIXadL_ZL6op_addffEEfffJPKfS1_S1_S1_S1_S1_EEvPKT0_PKT1_PT2_15HIP_vector_typeIjLj3EESB_SB_jSB_SB_SB_SB_SB_SB_iiiiiiiiiiiDpT3_,comdat
.Lfunc_end72:
	.size	_ZL19k_bin_bcast_unravelIXadL_ZL6op_addffEEfffJPKfS1_S1_S1_S1_S1_EEvPKT0_PKT1_PT2_15HIP_vector_typeIjLj3EESB_SB_jSB_SB_SB_SB_SB_SB_iiiiiiiiiiiDpT3_, .Lfunc_end72-_ZL19k_bin_bcast_unravelIXadL_ZL6op_addffEEfffJPKfS1_S1_S1_S1_S1_EEvPKT0_PKT1_PT2_15HIP_vector_typeIjLj3EESB_SB_jSB_SB_SB_SB_SB_SB_iiiiiiiiiiiDpT3_
                                        ; -- End function
	.section	.AMDGPU.csdata,"",@progbits
; Kernel info:
; codeLenInByte = 968
; NumSgprs: 30
; NumVgprs: 14
; ScratchSize: 0
; MemoryBound: 0
; FloatMode: 240
; IeeeMode: 1
; LDSByteSize: 0 bytes/workgroup (compile time only)
; SGPRBlocks: 3
; VGPRBlocks: 1
; NumSGPRsForWavesPerEU: 30
; NumVGPRsForWavesPerEU: 14
; Occupancy: 16
; WaveLimiterHint : 1
; COMPUTE_PGM_RSRC2:SCRATCH_EN: 0
; COMPUTE_PGM_RSRC2:USER_SGPR: 15
; COMPUTE_PGM_RSRC2:TRAP_HANDLER: 0
; COMPUTE_PGM_RSRC2:TGID_X_EN: 1
; COMPUTE_PGM_RSRC2:TGID_Y_EN: 0
; COMPUTE_PGM_RSRC2:TGID_Z_EN: 0
; COMPUTE_PGM_RSRC2:TIDIG_COMP_CNT: 0
	.section	.text._ZL11k_bin_bcastIXadL_ZL6op_addffEEfffJPKfS1_S1_S1_S1_S1_EEvPKT0_PKT1_PT2_iii15HIP_vector_typeIjLj3EESB_SB_SB_SB_iiiiiiiiiiiDpT3_,"axG",@progbits,_ZL11k_bin_bcastIXadL_ZL6op_addffEEfffJPKfS1_S1_S1_S1_S1_EEvPKT0_PKT1_PT2_iii15HIP_vector_typeIjLj3EESB_SB_SB_SB_iiiiiiiiiiiDpT3_,comdat
	.globl	_ZL11k_bin_bcastIXadL_ZL6op_addffEEfffJPKfS1_S1_S1_S1_S1_EEvPKT0_PKT1_PT2_iii15HIP_vector_typeIjLj3EESB_SB_SB_SB_iiiiiiiiiiiDpT3_ ; -- Begin function _ZL11k_bin_bcastIXadL_ZL6op_addffEEfffJPKfS1_S1_S1_S1_S1_EEvPKT0_PKT1_PT2_iii15HIP_vector_typeIjLj3EESB_SB_SB_SB_iiiiiiiiiiiDpT3_
	.p2align	8
	.type	_ZL11k_bin_bcastIXadL_ZL6op_addffEEfffJPKfS1_S1_S1_S1_S1_EEvPKT0_PKT1_PT2_iii15HIP_vector_typeIjLj3EESB_SB_SB_SB_iiiiiiiiiiiDpT3_,@function
_ZL11k_bin_bcastIXadL_ZL6op_addffEEfffJPKfS1_S1_S1_S1_S1_EEvPKT0_PKT1_PT2_iii15HIP_vector_typeIjLj3EESB_SB_SB_SB_iiiiiiiiiiiDpT3_: ; @_ZL11k_bin_bcastIXadL_ZL6op_addffEEfffJPKfS1_S1_S1_S1_S1_EEvPKT0_PKT1_PT2_iii15HIP_vector_typeIjLj3EESB_SB_SB_SB_iiiiiiiiiiiDpT3_
; %bb.0:
	s_clause 0x1
	s_load_b64 s[2:3], s[0:1], 0xcc
	s_load_b256 s[16:23], s[0:1], 0x18
	v_bfe_u32 v1, v0, 20, 10
	s_add_u32 s34, s0, 0xc0
	s_addc_u32 s35, s1, 0
	s_waitcnt lgkmcnt(0)
	s_and_b32 s3, s3, 0xffff
	s_delay_alu instid0(SALU_CYCLE_1) | instskip(SKIP_3) | instid1(VALU_DEP_3)
	v_mad_u64_u32 v[4:5], null, s15, s3, v[1:2]
	v_and_b32_e32 v2, 0x3ff, v0
	v_bfe_u32 v5, v0, 10, 10
	s_lshr_b32 s3, s2, 16
	v_mul_hi_u32 v1, v4, s19
	s_delay_alu instid0(VALU_DEP_1) | instskip(NEXT) | instid1(VALU_DEP_1)
	v_add_nc_u32_e32 v1, v4, v1
	v_lshrrev_b32_e32 v3, s20, v1
	s_and_b32 s20, s2, 0xffff
	s_delay_alu instid0(VALU_DEP_1) | instskip(SKIP_1) | instid1(VALU_DEP_2)
	v_mul_lo_u32 v6, v3, s21
	v_mad_u64_u32 v[0:1], null, s13, s20, v[2:3]
	v_mad_u64_u32 v[1:2], null, s14, s3, v[5:6]
	v_sub_nc_u32_e32 v4, v4, v6
	s_delay_alu instid0(VALU_DEP_3) | instskip(SKIP_1) | instid1(VALU_DEP_3)
	v_cmp_gt_u32_e32 vcc_lo, s16, v0
	v_cmp_gt_u32_e64 s3, s18, v3
	v_cmp_gt_u32_e64 s4, s21, v4
	;; [unrolled: 1-line block ×3, first 2 shown]
	s_delay_alu instid0(VALU_DEP_1)
	s_and_b32 s2, vcc_lo, s2
	s_delay_alu instid0(VALU_DEP_3) | instid1(SALU_CYCLE_1)
	s_and_b32 s2, s2, s3
	s_delay_alu instid0(VALU_DEP_2) | instid1(SALU_CYCLE_1)
	s_and_b32 s2, s2, s4
	s_delay_alu instid0(SALU_CYCLE_1)
	s_and_saveexec_b32 s3, s2
	s_cbranch_execz .LBB73_6
; %bb.1:
	v_cmp_gt_i32_e32 vcc_lo, s16, v0
	s_and_b32 exec_lo, exec_lo, vcc_lo
	s_cbranch_execz .LBB73_6
; %bb.2:
	s_clause 0x2
	s_load_b256 s[24:31], s[0:1], 0x3c
	s_load_b256 s[4:11], s[0:1], 0x60
	s_load_b128 s[36:39], s[0:1], 0x80
	s_load_b32 s17, s[34:35], 0x0
	s_clause 0x4
	s_load_b32 s21, s[0:1], 0x5c
	s_load_b64 s[18:19], s[0:1], 0x0
	s_load_b32 s33, s[0:1], 0x38
	s_load_b64 s[2:3], s[0:1], 0x10
	s_load_b128 s[12:15], s[0:1], 0xb0
	s_waitcnt lgkmcnt(0)
	v_mul_hi_u32 v2, s24, v1
	v_mul_hi_u32 v5, s27, v3
	v_mul_hi_u32 v7, s30, v4
	v_mul_lo_u32 v9, v4, s10
	v_mul_lo_u32 v10, v3, s9
	;; [unrolled: 1-line block ×3, first 2 shown]
	v_mov_b32_e32 v6, 0
	v_mul_lo_u32 v12, v4, s6
	v_add_nc_u32_e32 v2, v1, v2
	v_add_nc_u32_e32 v5, v3, v5
	s_delay_alu instid0(VALU_DEP_4) | instskip(SKIP_1) | instid1(VALU_DEP_4)
	v_dual_mov_b32 v8, v6 :: v_dual_add_nc_u32 v7, v4, v7
	v_mul_lo_u32 v13, v3, s5
	v_lshrrev_b32_e32 v2, s25, v2
	s_delay_alu instid0(VALU_DEP_4) | instskip(NEXT) | instid1(VALU_DEP_4)
	v_lshrrev_b32_e32 v15, s28, v5
	v_lshrrev_b32_e32 v16, s31, v7
	v_add3_u32 v5, v10, v11, v9
	v_mul_lo_u32 v14, v1, s4
	v_mul_lo_u32 v9, v2, s26
	;; [unrolled: 1-line block ×4, first 2 shown]
	v_lshlrev_b64 v[5:6], 2, v[5:6]
	s_load_b256 s[24:31], s[0:1], 0x90
	s_cmp_lg_u64 s[18:19], 0
	v_mul_lo_u32 v2, s7, v0
	v_add3_u32 v7, v13, v14, v12
	v_sub_nc_u32_e32 v1, v1, v9
	v_sub_nc_u32_e32 v3, v3, v10
	;; [unrolled: 1-line block ×3, first 2 shown]
	v_add_co_u32 v9, vcc_lo, s18, v5
	v_add_co_ci_u32_e32 v5, vcc_lo, s19, v6, vcc_lo
	v_lshlrev_b64 v[7:8], 2, v[7:8]
	s_delay_alu instid0(VALU_DEP_4)
	v_mul_lo_u32 v10, v4, s38
	v_mul_lo_u32 v3, v3, s37
	;; [unrolled: 1-line block ×3, first 2 shown]
	s_cselect_b32 vcc_lo, -1, 0
	s_sub_i32 s5, 0, s33
	v_cndmask_b32_e32 v5, 0, v5, vcc_lo
	v_cndmask_b32_e32 v4, 0, v9, vcc_lo
	v_add_co_u32 v6, vcc_lo, s2, v7
	v_add_co_ci_u32_e32 v7, vcc_lo, s3, v8, vcc_lo
	s_delay_alu instid0(VALU_DEP_3)
	v_cmp_ne_u64_e32 vcc_lo, 0, v[4:5]
	v_add3_u32 v8, v3, v10, v1
	s_mul_i32 s2, s17, s20
	s_mov_b32 s3, 0
	s_mul_i32 s4, s2, s7
	s_branch .LBB73_4
.LBB73_3:                               ;   in Loop: Header=BB73_4 Depth=1
	s_or_b32 exec_lo, exec_lo, s1
	v_mul_hi_u32 v3, s22, v0
	v_add_nc_u32_e32 v2, s4, v2
	s_delay_alu instid0(VALU_DEP_2) | instskip(NEXT) | instid1(VALU_DEP_1)
	v_add_nc_u32_e32 v3, v0, v3
	v_lshrrev_b32_e32 v3, s23, v3
	s_waitcnt vmcnt(0)
	s_delay_alu instid0(VALU_DEP_1) | instskip(NEXT) | instid1(VALU_DEP_1)
	v_mad_u64_u32 v[9:10], null, s5, v3, v[0:1]
	v_mul_lo_u32 v3, v9, s11
	s_delay_alu instid0(VALU_DEP_1) | instskip(NEXT) | instid1(VALU_DEP_1)
	v_add_co_u32 v9, s0, v3, v8
	v_add_co_ci_u32_e64 v10, null, 0, 0, s0
	s_delay_alu instid0(VALU_DEP_1) | instskip(SKIP_1) | instid1(VALU_DEP_1)
	v_lshlrev_b64 v[9:10], 2, v[9:10]
	s_waitcnt lgkmcnt(0)
	v_add_co_u32 v11, s0, s24, v9
	s_delay_alu instid0(VALU_DEP_1) | instskip(SKIP_1) | instid1(VALU_DEP_1)
	v_add_co_ci_u32_e64 v12, s0, s25, v10, s0
	v_add_co_u32 v13, s0, s26, v9
	v_add_co_ci_u32_e64 v14, s0, s27, v10, s0
	global_load_b32 v3, v[11:12], off
	v_add_co_u32 v11, s0, s28, v9
	s_delay_alu instid0(VALU_DEP_1) | instskip(SKIP_2) | instid1(VALU_DEP_1)
	v_add_co_ci_u32_e64 v12, s0, s29, v10, s0
	global_load_b32 v15, v[13:14], off
	v_add_co_u32 v13, s0, s30, v9
	v_add_co_ci_u32_e64 v14, s0, s31, v10, s0
	global_load_b32 v16, v[11:12], off
	v_add_co_u32 v11, s0, s12, v9
	s_delay_alu instid0(VALU_DEP_1) | instskip(SKIP_2) | instid1(VALU_DEP_1)
	v_add_co_ci_u32_e64 v12, s0, s13, v10, s0
	global_load_b32 v13, v[13:14], off
	v_add_co_u32 v9, s0, s14, v9
	v_add_co_ci_u32_e64 v10, s0, s15, v10, s0
	global_load_b32 v11, v[11:12], off
	global_load_b32 v12, v[9:10], off
	s_waitcnt vmcnt(5)
	v_add_f32_e32 v1, v1, v3
	s_waitcnt vmcnt(4)
	s_delay_alu instid0(VALU_DEP_1) | instskip(SKIP_1) | instid1(VALU_DEP_1)
	v_add_f32_e32 v1, v1, v15
	s_waitcnt vmcnt(3)
	v_add_f32_e32 v3, v1, v16
	v_ashrrev_i32_e32 v1, 31, v0
	s_waitcnt vmcnt(2)
	s_delay_alu instid0(VALU_DEP_2) | instskip(NEXT) | instid1(VALU_DEP_2)
	v_add_f32_e32 v3, v3, v13
	v_lshlrev_b64 v[9:10], 2, v[0:1]
	s_waitcnt vmcnt(1)
	s_delay_alu instid0(VALU_DEP_2) | instskip(NEXT) | instid1(VALU_DEP_1)
	v_dual_add_f32 v1, v3, v11 :: v_dual_add_nc_u32 v0, s2, v0
	v_cmp_le_i32_e64 s0, s16, v0
	s_delay_alu instid0(VALU_DEP_3) | instskip(NEXT) | instid1(VALU_DEP_1)
	v_add_co_u32 v9, s1, v6, v9
	v_add_co_ci_u32_e64 v10, s1, v7, v10, s1
	s_waitcnt vmcnt(0)
	v_add_f32_e32 v1, v1, v12
	s_or_b32 s3, s0, s3
	global_store_b32 v[9:10], v1, off
	s_and_not1_b32 exec_lo, exec_lo, s3
	s_cbranch_execz .LBB73_6
.LBB73_4:                               ; =>This Inner Loop Header: Depth=1
	v_mov_b32_e32 v1, 0
	s_and_saveexec_b32 s1, vcc_lo
	s_cbranch_execz .LBB73_3
; %bb.5:                                ;   in Loop: Header=BB73_4 Depth=1
	v_ashrrev_i32_e32 v3, 31, v2
	s_delay_alu instid0(VALU_DEP_1) | instskip(NEXT) | instid1(VALU_DEP_1)
	v_lshlrev_b64 v[9:10], 2, v[2:3]
	v_add_co_u32 v9, s0, v4, v9
	s_delay_alu instid0(VALU_DEP_1)
	v_add_co_ci_u32_e64 v10, s0, v5, v10, s0
	global_load_b32 v1, v[9:10], off
	s_branch .LBB73_3
.LBB73_6:
	s_nop 0
	s_sendmsg sendmsg(MSG_DEALLOC_VGPRS)
	s_endpgm
	.section	.rodata,"a",@progbits
	.p2align	6, 0x0
	.amdhsa_kernel _ZL11k_bin_bcastIXadL_ZL6op_addffEEfffJPKfS1_S1_S1_S1_S1_EEvPKT0_PKT1_PT2_iii15HIP_vector_typeIjLj3EESB_SB_SB_SB_iiiiiiiiiiiDpT3_
		.amdhsa_group_segment_fixed_size 0
		.amdhsa_private_segment_fixed_size 0
		.amdhsa_kernarg_size 448
		.amdhsa_user_sgpr_count 13
		.amdhsa_user_sgpr_dispatch_ptr 0
		.amdhsa_user_sgpr_queue_ptr 0
		.amdhsa_user_sgpr_kernarg_segment_ptr 1
		.amdhsa_user_sgpr_dispatch_id 0
		.amdhsa_user_sgpr_private_segment_size 0
		.amdhsa_wavefront_size32 1
		.amdhsa_uses_dynamic_stack 0
		.amdhsa_enable_private_segment 0
		.amdhsa_system_sgpr_workgroup_id_x 1
		.amdhsa_system_sgpr_workgroup_id_y 1
		.amdhsa_system_sgpr_workgroup_id_z 1
		.amdhsa_system_sgpr_workgroup_info 0
		.amdhsa_system_vgpr_workitem_id 2
		.amdhsa_next_free_vgpr 17
		.amdhsa_next_free_sgpr 40
		.amdhsa_reserve_vcc 1
		.amdhsa_float_round_mode_32 0
		.amdhsa_float_round_mode_16_64 0
		.amdhsa_float_denorm_mode_32 3
		.amdhsa_float_denorm_mode_16_64 3
		.amdhsa_dx10_clamp 1
		.amdhsa_ieee_mode 1
		.amdhsa_fp16_overflow 0
		.amdhsa_workgroup_processor_mode 1
		.amdhsa_memory_ordered 1
		.amdhsa_forward_progress 0
		.amdhsa_shared_vgpr_count 0
		.amdhsa_exception_fp_ieee_invalid_op 0
		.amdhsa_exception_fp_denorm_src 0
		.amdhsa_exception_fp_ieee_div_zero 0
		.amdhsa_exception_fp_ieee_overflow 0
		.amdhsa_exception_fp_ieee_underflow 0
		.amdhsa_exception_fp_ieee_inexact 0
		.amdhsa_exception_int_div_zero 0
	.end_amdhsa_kernel
	.section	.text._ZL11k_bin_bcastIXadL_ZL6op_addffEEfffJPKfS1_S1_S1_S1_S1_EEvPKT0_PKT1_PT2_iii15HIP_vector_typeIjLj3EESB_SB_SB_SB_iiiiiiiiiiiDpT3_,"axG",@progbits,_ZL11k_bin_bcastIXadL_ZL6op_addffEEfffJPKfS1_S1_S1_S1_S1_EEvPKT0_PKT1_PT2_iii15HIP_vector_typeIjLj3EESB_SB_SB_SB_iiiiiiiiiiiDpT3_,comdat
.Lfunc_end73:
	.size	_ZL11k_bin_bcastIXadL_ZL6op_addffEEfffJPKfS1_S1_S1_S1_S1_EEvPKT0_PKT1_PT2_iii15HIP_vector_typeIjLj3EESB_SB_SB_SB_iiiiiiiiiiiDpT3_, .Lfunc_end73-_ZL11k_bin_bcastIXadL_ZL6op_addffEEfffJPKfS1_S1_S1_S1_S1_EEvPKT0_PKT1_PT2_iii15HIP_vector_typeIjLj3EESB_SB_SB_SB_iiiiiiiiiiiDpT3_
                                        ; -- End function
	.section	.AMDGPU.csdata,"",@progbits
; Kernel info:
; codeLenInByte = 1048
; NumSgprs: 42
; NumVgprs: 17
; ScratchSize: 0
; MemoryBound: 0
; FloatMode: 240
; IeeeMode: 1
; LDSByteSize: 0 bytes/workgroup (compile time only)
; SGPRBlocks: 5
; VGPRBlocks: 2
; NumSGPRsForWavesPerEU: 42
; NumVGPRsForWavesPerEU: 17
; Occupancy: 16
; WaveLimiterHint : 1
; COMPUTE_PGM_RSRC2:SCRATCH_EN: 0
; COMPUTE_PGM_RSRC2:USER_SGPR: 13
; COMPUTE_PGM_RSRC2:TRAP_HANDLER: 0
; COMPUTE_PGM_RSRC2:TGID_X_EN: 1
; COMPUTE_PGM_RSRC2:TGID_Y_EN: 1
; COMPUTE_PGM_RSRC2:TGID_Z_EN: 1
; COMPUTE_PGM_RSRC2:TIDIG_COMP_CNT: 2
	.section	.text._ZL19k_bin_bcast_unravelIXadL_ZL6op_addffEE6__halfS0_S0_JPKS0_S2_S2_S2_S2_S2_EEvPKT0_PKT1_PT2_15HIP_vector_typeIjLj3EESC_SC_jSC_SC_SC_SC_SC_SC_iiiiiiiiiiiDpT3_,"axG",@progbits,_ZL19k_bin_bcast_unravelIXadL_ZL6op_addffEE6__halfS0_S0_JPKS0_S2_S2_S2_S2_S2_EEvPKT0_PKT1_PT2_15HIP_vector_typeIjLj3EESC_SC_jSC_SC_SC_SC_SC_SC_iiiiiiiiiiiDpT3_,comdat
	.globl	_ZL19k_bin_bcast_unravelIXadL_ZL6op_addffEE6__halfS0_S0_JPKS0_S2_S2_S2_S2_S2_EEvPKT0_PKT1_PT2_15HIP_vector_typeIjLj3EESC_SC_jSC_SC_SC_SC_SC_SC_iiiiiiiiiiiDpT3_ ; -- Begin function _ZL19k_bin_bcast_unravelIXadL_ZL6op_addffEE6__halfS0_S0_JPKS0_S2_S2_S2_S2_S2_EEvPKT0_PKT1_PT2_15HIP_vector_typeIjLj3EESC_SC_jSC_SC_SC_SC_SC_SC_iiiiiiiiiiiDpT3_
	.p2align	8
	.type	_ZL19k_bin_bcast_unravelIXadL_ZL6op_addffEE6__halfS0_S0_JPKS0_S2_S2_S2_S2_S2_EEvPKT0_PKT1_PT2_15HIP_vector_typeIjLj3EESC_SC_jSC_SC_SC_SC_SC_SC_iiiiiiiiiiiDpT3_,@function
_ZL19k_bin_bcast_unravelIXadL_ZL6op_addffEE6__halfS0_S0_JPKS0_S2_S2_S2_S2_S2_EEvPKT0_PKT1_PT2_15HIP_vector_typeIjLj3EESC_SC_jSC_SC_SC_SC_SC_SC_iiiiiiiiiiiDpT3_: ; @_ZL19k_bin_bcast_unravelIXadL_ZL6op_addffEE6__halfS0_S0_JPKS0_S2_S2_S2_S2_S2_EEvPKT0_PKT1_PT2_15HIP_vector_typeIjLj3EESC_SC_jSC_SC_SC_SC_SC_SC_iiiiiiiiiiiDpT3_
; %bb.0:
	s_clause 0x1
	s_load_b32 s2, s[0:1], 0xf4
	s_load_b256 s[4:11], s[0:1], 0x38
	s_waitcnt lgkmcnt(0)
	s_and_b32 s2, s2, 0xffff
	s_delay_alu instid0(SALU_CYCLE_1) | instskip(SKIP_3) | instid1(VALU_DEP_1)
	v_mad_u64_u32 v[2:3], null, s15, s2, v[0:1]
	s_clause 0x1
	s_load_b128 s[12:15], s[0:1], 0x18
	s_load_b32 s2, s[0:1], 0x2c
	v_mul_hi_u32 v0, v2, s6
	s_delay_alu instid0(VALU_DEP_1) | instskip(NEXT) | instid1(VALU_DEP_1)
	v_add_nc_u32_e32 v0, v2, v0
	v_lshrrev_b32_e32 v1, s7, v0
	s_delay_alu instid0(VALU_DEP_1) | instskip(NEXT) | instid1(VALU_DEP_1)
	v_mul_lo_u32 v0, v1, s8
	v_sub_nc_u32_e32 v0, v2, v0
	s_delay_alu instid0(VALU_DEP_1) | instskip(NEXT) | instid1(VALU_DEP_1)
	v_mul_hi_u32 v2, v0, s9
	v_add_nc_u32_e32 v2, v0, v2
	s_delay_alu instid0(VALU_DEP_1) | instskip(NEXT) | instid1(VALU_DEP_1)
	v_lshrrev_b32_e32 v2, s10, v2
	v_mul_lo_u32 v3, v2, s11
	v_cmp_gt_u32_e64 s3, s4, v2
	v_cmp_gt_u32_e64 s4, s5, v1
	s_delay_alu instid0(VALU_DEP_3) | instskip(SKIP_1) | instid1(VALU_DEP_1)
	v_sub_nc_u32_e32 v0, v0, v3
	s_waitcnt lgkmcnt(0)
	v_mul_hi_u32 v3, v0, s12
	s_delay_alu instid0(VALU_DEP_1) | instskip(NEXT) | instid1(VALU_DEP_1)
	v_add_nc_u32_e32 v3, v0, v3
	v_lshrrev_b32_e32 v3, s13, v3
	s_delay_alu instid0(VALU_DEP_1) | instskip(SKIP_1) | instid1(VALU_DEP_2)
	v_mul_lo_u32 v4, v3, s14
	v_cmp_gt_u32_e64 s2, s2, v3
	v_sub_nc_u32_e32 v0, v0, v4
	s_delay_alu instid0(VALU_DEP_1) | instskip(NEXT) | instid1(VALU_DEP_3)
	v_cmp_gt_u32_e32 vcc_lo, s14, v0
	s_and_b32 s2, vcc_lo, s2
	s_delay_alu instid0(SALU_CYCLE_1) | instskip(NEXT) | instid1(SALU_CYCLE_1)
	s_and_b32 s2, s2, s3
	s_and_b32 s2, s4, s2
	s_delay_alu instid0(SALU_CYCLE_1)
	s_and_saveexec_b32 s3, s2
	s_cbranch_execz .LBB74_5
; %bb.1:
	s_clause 0x4
	s_load_b64 s[2:3], s[0:1], 0x0
	s_load_b128 s[20:23], s[0:1], 0xa8
	s_load_b256 s[4:11], s[0:1], 0x88
	s_load_b128 s[24:27], s[0:1], 0x78
	s_load_b256 s[12:19], s[0:1], 0x58
	s_waitcnt lgkmcnt(0)
	s_cmp_eq_u64 s[2:3], 0
	s_cbranch_scc1 .LBB74_3
; %bb.2:
	v_mul_lo_u32 v4, v1, s10
	v_mul_lo_u32 v6, v2, s9
	;; [unrolled: 1-line block ×3, first 2 shown]
	v_mov_b32_e32 v5, 0
	s_delay_alu instid0(VALU_DEP_2) | instskip(NEXT) | instid1(VALU_DEP_1)
	v_add3_u32 v4, v6, v4, v7
	v_lshlrev_b64 v[6:7], 1, v[4:5]
	v_mul_lo_u32 v4, v0, s7
	s_delay_alu instid0(VALU_DEP_2) | instskip(NEXT) | instid1(VALU_DEP_3)
	v_add_co_u32 v6, vcc_lo, s2, v6
	v_add_co_ci_u32_e32 v7, vcc_lo, s3, v7, vcc_lo
	s_delay_alu instid0(VALU_DEP_3) | instskip(NEXT) | instid1(VALU_DEP_1)
	v_lshlrev_b64 v[4:5], 1, v[4:5]
	v_add_co_u32 v4, vcc_lo, v6, v4
	s_delay_alu instid0(VALU_DEP_2)
	v_add_co_ci_u32_e32 v5, vcc_lo, v7, v5, vcc_lo
	global_load_u16 v4, v[4:5], off
	s_waitcnt vmcnt(0)
	v_cvt_f32_f16_e32 v4, v4
	s_branch .LBB74_4
.LBB74_3:
	v_mov_b32_e32 v4, 0
.LBB74_4:
	v_mul_hi_u32 v5, s25, v1
	v_mul_hi_u32 v6, s18, v2
	;; [unrolled: 1-line block ×4, first 2 shown]
	s_delay_alu instid0(VALU_DEP_4) | instskip(NEXT) | instid1(VALU_DEP_4)
	v_add_nc_u32_e32 v5, v1, v5
	v_add_nc_u32_e32 v6, v2, v6
	s_delay_alu instid0(VALU_DEP_4) | instskip(NEXT) | instid1(VALU_DEP_4)
	v_add_nc_u32_e32 v7, v3, v7
	v_add_nc_u32_e32 v8, v0, v8
	s_delay_alu instid0(VALU_DEP_4) | instskip(NEXT) | instid1(VALU_DEP_4)
	v_lshrrev_b32_e32 v5, s26, v5
	v_lshrrev_b32_e32 v6, s19, v6
	s_delay_alu instid0(VALU_DEP_4) | instskip(NEXT) | instid1(VALU_DEP_4)
	v_lshrrev_b32_e32 v7, s16, v7
	v_lshrrev_b32_e32 v8, s13, v8
	s_delay_alu instid0(VALU_DEP_4) | instskip(NEXT) | instid1(VALU_DEP_4)
	v_mul_lo_u32 v5, v5, s27
	v_mul_lo_u32 v6, v6, s24
	s_delay_alu instid0(VALU_DEP_4) | instskip(NEXT) | instid1(VALU_DEP_4)
	v_mul_lo_u32 v7, v7, s17
	v_mul_lo_u32 v8, v8, s14
	s_load_b128 s[16:19], s[0:1], 0xd8
	s_delay_alu instid0(VALU_DEP_4) | instskip(NEXT) | instid1(VALU_DEP_4)
	v_sub_nc_u32_e32 v5, v1, v5
	v_sub_nc_u32_e32 v6, v2, v6
	s_delay_alu instid0(VALU_DEP_4) | instskip(NEXT) | instid1(VALU_DEP_4)
	v_sub_nc_u32_e32 v7, v3, v7
	v_sub_nc_u32_e32 v8, v0, v8
	v_mul_lo_u32 v1, v1, s6
	v_mul_lo_u32 v5, v5, s22
	v_mul_lo_u32 v6, v6, s21
	v_mul_lo_u32 v7, v7, s20
	v_mul_lo_u32 v8, v8, s11
	s_clause 0x1
	s_load_b256 s[8:15], s[0:1], 0xb8
	s_load_b64 s[0:1], s[0:1], 0x10
	v_mul_lo_u32 v2, v2, s5
	s_delay_alu instid0(VALU_DEP_3) | instskip(NEXT) | instid1(VALU_DEP_3)
	v_add3_u32 v5, v6, v5, v7
	v_ashrrev_i32_e32 v6, 31, v8
	s_delay_alu instid0(VALU_DEP_2) | instskip(SKIP_1) | instid1(VALU_DEP_2)
	v_ashrrev_i32_e32 v7, 31, v5
	v_add_co_u32 v5, vcc_lo, v8, v5
	v_add_co_ci_u32_e32 v6, vcc_lo, v6, v7, vcc_lo
	s_delay_alu instid0(VALU_DEP_1) | instskip(SKIP_1) | instid1(VALU_DEP_1)
	v_lshlrev_b64 v[5:6], 1, v[5:6]
	s_waitcnt lgkmcnt(0)
	v_add_co_u32 v7, vcc_lo, s8, v5
	s_delay_alu instid0(VALU_DEP_2)
	v_add_co_ci_u32_e32 v8, vcc_lo, s9, v6, vcc_lo
	v_add_co_u32 v9, vcc_lo, s10, v5
	v_add_co_ci_u32_e32 v10, vcc_lo, s11, v6, vcc_lo
	global_load_u16 v11, v[7:8], off
	v_add_co_u32 v7, vcc_lo, s12, v5
	global_load_u16 v12, v[9:10], off
	v_add_co_ci_u32_e32 v8, vcc_lo, s13, v6, vcc_lo
	v_add_co_u32 v9, vcc_lo, s14, v5
	v_add_co_ci_u32_e32 v10, vcc_lo, s15, v6, vcc_lo
	global_load_u16 v13, v[7:8], off
	v_add_co_u32 v7, vcc_lo, s16, v5
	v_add_co_ci_u32_e32 v8, vcc_lo, s17, v6, vcc_lo
	global_load_u16 v9, v[9:10], off
	;; [unrolled: 3-line block ×3, first 2 shown]
	global_load_u16 v5, v[5:6], off
	s_waitcnt vmcnt(5)
	v_cvt_f32_f16_e32 v6, v11
	s_waitcnt vmcnt(4)
	v_cvt_f32_f16_e32 v8, v12
	s_delay_alu instid0(VALU_DEP_2) | instskip(SKIP_2) | instid1(VALU_DEP_2)
	v_add_f32_e32 v4, v4, v6
	s_waitcnt vmcnt(3)
	v_cvt_f32_f16_e32 v6, v13
	v_add_f32_e32 v4, v4, v8
	v_mul_lo_u32 v8, v3, s4
	v_mov_b32_e32 v3, 0
	s_waitcnt vmcnt(2)
	v_cvt_f32_f16_e32 v9, v9
	v_add_f32_e32 v4, v4, v6
	s_delay_alu instid0(VALU_DEP_4)
	v_add3_u32 v2, v2, v1, v8
	v_mov_b32_e32 v1, v3
	s_waitcnt vmcnt(1)
	v_cvt_f32_f16_e32 v6, v7
	v_add_f32_e32 v4, v4, v9
	s_waitcnt vmcnt(0)
	v_cvt_f32_f16_e32 v5, v5
	v_lshlrev_b64 v[2:3], 1, v[2:3]
	v_lshlrev_b64 v[0:1], 1, v[0:1]
	v_add_f32_e32 v4, v4, v6
	s_delay_alu instid0(VALU_DEP_3) | instskip(NEXT) | instid1(VALU_DEP_2)
	v_add_co_u32 v2, vcc_lo, s0, v2
	v_add_f32_e32 v4, v4, v5
	v_add_co_ci_u32_e32 v3, vcc_lo, s1, v3, vcc_lo
	s_delay_alu instid0(VALU_DEP_3) | instskip(NEXT) | instid1(VALU_DEP_3)
	v_add_co_u32 v0, vcc_lo, v2, v0
	v_cvt_f16_f32_e32 v4, v4
	s_delay_alu instid0(VALU_DEP_3)
	v_add_co_ci_u32_e32 v1, vcc_lo, v3, v1, vcc_lo
	global_store_b16 v[0:1], v4, off
.LBB74_5:
	s_nop 0
	s_sendmsg sendmsg(MSG_DEALLOC_VGPRS)
	s_endpgm
	.section	.rodata,"a",@progbits
	.p2align	6, 0x0
	.amdhsa_kernel _ZL19k_bin_bcast_unravelIXadL_ZL6op_addffEE6__halfS0_S0_JPKS0_S2_S2_S2_S2_S2_EEvPKT0_PKT1_PT2_15HIP_vector_typeIjLj3EESC_SC_jSC_SC_SC_SC_SC_SC_iiiiiiiiiiiDpT3_
		.amdhsa_group_segment_fixed_size 0
		.amdhsa_private_segment_fixed_size 0
		.amdhsa_kernarg_size 488
		.amdhsa_user_sgpr_count 15
		.amdhsa_user_sgpr_dispatch_ptr 0
		.amdhsa_user_sgpr_queue_ptr 0
		.amdhsa_user_sgpr_kernarg_segment_ptr 1
		.amdhsa_user_sgpr_dispatch_id 0
		.amdhsa_user_sgpr_private_segment_size 0
		.amdhsa_wavefront_size32 1
		.amdhsa_uses_dynamic_stack 0
		.amdhsa_enable_private_segment 0
		.amdhsa_system_sgpr_workgroup_id_x 1
		.amdhsa_system_sgpr_workgroup_id_y 0
		.amdhsa_system_sgpr_workgroup_id_z 0
		.amdhsa_system_sgpr_workgroup_info 0
		.amdhsa_system_vgpr_workitem_id 0
		.amdhsa_next_free_vgpr 14
		.amdhsa_next_free_sgpr 28
		.amdhsa_reserve_vcc 1
		.amdhsa_float_round_mode_32 0
		.amdhsa_float_round_mode_16_64 0
		.amdhsa_float_denorm_mode_32 3
		.amdhsa_float_denorm_mode_16_64 3
		.amdhsa_dx10_clamp 1
		.amdhsa_ieee_mode 1
		.amdhsa_fp16_overflow 0
		.amdhsa_workgroup_processor_mode 1
		.amdhsa_memory_ordered 1
		.amdhsa_forward_progress 0
		.amdhsa_shared_vgpr_count 0
		.amdhsa_exception_fp_ieee_invalid_op 0
		.amdhsa_exception_fp_denorm_src 0
		.amdhsa_exception_fp_ieee_div_zero 0
		.amdhsa_exception_fp_ieee_overflow 0
		.amdhsa_exception_fp_ieee_underflow 0
		.amdhsa_exception_fp_ieee_inexact 0
		.amdhsa_exception_int_div_zero 0
	.end_amdhsa_kernel
	.section	.text._ZL19k_bin_bcast_unravelIXadL_ZL6op_addffEE6__halfS0_S0_JPKS0_S2_S2_S2_S2_S2_EEvPKT0_PKT1_PT2_15HIP_vector_typeIjLj3EESC_SC_jSC_SC_SC_SC_SC_SC_iiiiiiiiiiiDpT3_,"axG",@progbits,_ZL19k_bin_bcast_unravelIXadL_ZL6op_addffEE6__halfS0_S0_JPKS0_S2_S2_S2_S2_S2_EEvPKT0_PKT1_PT2_15HIP_vector_typeIjLj3EESC_SC_jSC_SC_SC_SC_SC_SC_iiiiiiiiiiiDpT3_,comdat
.Lfunc_end74:
	.size	_ZL19k_bin_bcast_unravelIXadL_ZL6op_addffEE6__halfS0_S0_JPKS0_S2_S2_S2_S2_S2_EEvPKT0_PKT1_PT2_15HIP_vector_typeIjLj3EESC_SC_jSC_SC_SC_SC_SC_SC_iiiiiiiiiiiDpT3_, .Lfunc_end74-_ZL19k_bin_bcast_unravelIXadL_ZL6op_addffEE6__halfS0_S0_JPKS0_S2_S2_S2_S2_S2_EEvPKT0_PKT1_PT2_15HIP_vector_typeIjLj3EESC_SC_jSC_SC_SC_SC_SC_SC_iiiiiiiiiiiDpT3_
                                        ; -- End function
	.section	.AMDGPU.csdata,"",@progbits
; Kernel info:
; codeLenInByte = 996
; NumSgprs: 30
; NumVgprs: 14
; ScratchSize: 0
; MemoryBound: 0
; FloatMode: 240
; IeeeMode: 1
; LDSByteSize: 0 bytes/workgroup (compile time only)
; SGPRBlocks: 3
; VGPRBlocks: 1
; NumSGPRsForWavesPerEU: 30
; NumVGPRsForWavesPerEU: 14
; Occupancy: 16
; WaveLimiterHint : 1
; COMPUTE_PGM_RSRC2:SCRATCH_EN: 0
; COMPUTE_PGM_RSRC2:USER_SGPR: 15
; COMPUTE_PGM_RSRC2:TRAP_HANDLER: 0
; COMPUTE_PGM_RSRC2:TGID_X_EN: 1
; COMPUTE_PGM_RSRC2:TGID_Y_EN: 0
; COMPUTE_PGM_RSRC2:TGID_Z_EN: 0
; COMPUTE_PGM_RSRC2:TIDIG_COMP_CNT: 0
	.section	.text._ZL11k_bin_bcastIXadL_ZL6op_addffEE6__halfS0_S0_JPKS0_S2_S2_S2_S2_S2_EEvPKT0_PKT1_PT2_iii15HIP_vector_typeIjLj3EESC_SC_SC_SC_iiiiiiiiiiiDpT3_,"axG",@progbits,_ZL11k_bin_bcastIXadL_ZL6op_addffEE6__halfS0_S0_JPKS0_S2_S2_S2_S2_S2_EEvPKT0_PKT1_PT2_iii15HIP_vector_typeIjLj3EESC_SC_SC_SC_iiiiiiiiiiiDpT3_,comdat
	.globl	_ZL11k_bin_bcastIXadL_ZL6op_addffEE6__halfS0_S0_JPKS0_S2_S2_S2_S2_S2_EEvPKT0_PKT1_PT2_iii15HIP_vector_typeIjLj3EESC_SC_SC_SC_iiiiiiiiiiiDpT3_ ; -- Begin function _ZL11k_bin_bcastIXadL_ZL6op_addffEE6__halfS0_S0_JPKS0_S2_S2_S2_S2_S2_EEvPKT0_PKT1_PT2_iii15HIP_vector_typeIjLj3EESC_SC_SC_SC_iiiiiiiiiiiDpT3_
	.p2align	8
	.type	_ZL11k_bin_bcastIXadL_ZL6op_addffEE6__halfS0_S0_JPKS0_S2_S2_S2_S2_S2_EEvPKT0_PKT1_PT2_iii15HIP_vector_typeIjLj3EESC_SC_SC_SC_iiiiiiiiiiiDpT3_,@function
_ZL11k_bin_bcastIXadL_ZL6op_addffEE6__halfS0_S0_JPKS0_S2_S2_S2_S2_S2_EEvPKT0_PKT1_PT2_iii15HIP_vector_typeIjLj3EESC_SC_SC_SC_iiiiiiiiiiiDpT3_: ; @_ZL11k_bin_bcastIXadL_ZL6op_addffEE6__halfS0_S0_JPKS0_S2_S2_S2_S2_S2_EEvPKT0_PKT1_PT2_iii15HIP_vector_typeIjLj3EESC_SC_SC_SC_iiiiiiiiiiiDpT3_
; %bb.0:
	s_clause 0x1
	s_load_b64 s[2:3], s[0:1], 0xcc
	s_load_b256 s[16:23], s[0:1], 0x18
	v_bfe_u32 v1, v0, 20, 10
	s_add_u32 s34, s0, 0xc0
	s_addc_u32 s35, s1, 0
	s_waitcnt lgkmcnt(0)
	s_and_b32 s3, s3, 0xffff
	s_delay_alu instid0(SALU_CYCLE_1) | instskip(SKIP_3) | instid1(VALU_DEP_3)
	v_mad_u64_u32 v[4:5], null, s15, s3, v[1:2]
	v_and_b32_e32 v2, 0x3ff, v0
	v_bfe_u32 v5, v0, 10, 10
	s_lshr_b32 s3, s2, 16
	v_mul_hi_u32 v1, v4, s19
	s_delay_alu instid0(VALU_DEP_1) | instskip(NEXT) | instid1(VALU_DEP_1)
	v_add_nc_u32_e32 v1, v4, v1
	v_lshrrev_b32_e32 v3, s20, v1
	s_and_b32 s20, s2, 0xffff
	s_delay_alu instid0(VALU_DEP_1) | instskip(SKIP_1) | instid1(VALU_DEP_2)
	v_mul_lo_u32 v6, v3, s21
	v_mad_u64_u32 v[0:1], null, s13, s20, v[2:3]
	v_mad_u64_u32 v[1:2], null, s14, s3, v[5:6]
	v_sub_nc_u32_e32 v4, v4, v6
	s_delay_alu instid0(VALU_DEP_3) | instskip(SKIP_1) | instid1(VALU_DEP_3)
	v_cmp_gt_u32_e32 vcc_lo, s16, v0
	v_cmp_gt_u32_e64 s3, s18, v3
	v_cmp_gt_u32_e64 s4, s21, v4
	;; [unrolled: 1-line block ×3, first 2 shown]
	s_delay_alu instid0(VALU_DEP_1)
	s_and_b32 s2, vcc_lo, s2
	s_delay_alu instid0(VALU_DEP_3) | instid1(SALU_CYCLE_1)
	s_and_b32 s2, s2, s3
	s_delay_alu instid0(VALU_DEP_2) | instid1(SALU_CYCLE_1)
	s_and_b32 s2, s2, s4
	s_delay_alu instid0(SALU_CYCLE_1)
	s_and_saveexec_b32 s3, s2
	s_cbranch_execz .LBB75_6
; %bb.1:
	v_cmp_gt_i32_e32 vcc_lo, s16, v0
	s_and_b32 exec_lo, exec_lo, vcc_lo
	s_cbranch_execz .LBB75_6
; %bb.2:
	s_clause 0x2
	s_load_b256 s[24:31], s[0:1], 0x3c
	s_load_b256 s[4:11], s[0:1], 0x60
	s_load_b128 s[36:39], s[0:1], 0x80
	s_load_b32 s17, s[34:35], 0x0
	s_clause 0x4
	s_load_b32 s21, s[0:1], 0x5c
	s_load_b64 s[18:19], s[0:1], 0x0
	s_load_b32 s33, s[0:1], 0x38
	s_load_b64 s[2:3], s[0:1], 0x10
	s_load_b128 s[12:15], s[0:1], 0xb0
	s_waitcnt lgkmcnt(0)
	v_mul_hi_u32 v2, s24, v1
	v_mul_hi_u32 v5, s27, v3
	;; [unrolled: 1-line block ×3, first 2 shown]
	v_mul_lo_u32 v9, v4, s10
	v_mul_lo_u32 v10, v3, s9
	;; [unrolled: 1-line block ×3, first 2 shown]
	v_mov_b32_e32 v6, 0
	v_mul_lo_u32 v12, v4, s6
	v_add_nc_u32_e32 v2, v1, v2
	v_add_nc_u32_e32 v5, v3, v5
	s_delay_alu instid0(VALU_DEP_4) | instskip(SKIP_1) | instid1(VALU_DEP_4)
	v_dual_mov_b32 v8, v6 :: v_dual_add_nc_u32 v7, v4, v7
	v_mul_lo_u32 v13, v3, s5
	v_lshrrev_b32_e32 v2, s25, v2
	s_delay_alu instid0(VALU_DEP_4) | instskip(NEXT) | instid1(VALU_DEP_4)
	v_lshrrev_b32_e32 v15, s28, v5
	v_lshrrev_b32_e32 v16, s31, v7
	v_add3_u32 v5, v10, v11, v9
	v_mul_lo_u32 v14, v1, s4
	v_mul_lo_u32 v9, v2, s26
	;; [unrolled: 1-line block ×4, first 2 shown]
	v_lshlrev_b64 v[5:6], 1, v[5:6]
	s_load_b256 s[24:31], s[0:1], 0x90
	s_cmp_lg_u64 s[18:19], 0
	v_mul_lo_u32 v2, s7, v0
	v_add3_u32 v7, v13, v14, v12
	v_sub_nc_u32_e32 v1, v1, v9
	v_sub_nc_u32_e32 v3, v3, v10
	;; [unrolled: 1-line block ×3, first 2 shown]
	v_add_co_u32 v9, vcc_lo, s18, v5
	v_add_co_ci_u32_e32 v5, vcc_lo, s19, v6, vcc_lo
	v_lshlrev_b64 v[7:8], 1, v[7:8]
	s_delay_alu instid0(VALU_DEP_4)
	v_mul_lo_u32 v10, v4, s38
	v_mul_lo_u32 v3, v3, s37
	;; [unrolled: 1-line block ×3, first 2 shown]
	s_cselect_b32 vcc_lo, -1, 0
	s_sub_i32 s5, 0, s33
	v_cndmask_b32_e32 v5, 0, v5, vcc_lo
	v_cndmask_b32_e32 v4, 0, v9, vcc_lo
	v_add_co_u32 v6, vcc_lo, s2, v7
	v_add_co_ci_u32_e32 v7, vcc_lo, s3, v8, vcc_lo
	s_delay_alu instid0(VALU_DEP_3)
	v_cmp_ne_u64_e32 vcc_lo, 0, v[4:5]
	v_add3_u32 v8, v3, v10, v1
	s_mul_i32 s2, s17, s20
	s_mov_b32 s3, 0
	s_mul_i32 s4, s2, s7
	s_branch .LBB75_4
.LBB75_3:                               ;   in Loop: Header=BB75_4 Depth=1
	s_or_b32 exec_lo, exec_lo, s1
	v_mul_hi_u32 v3, s22, v0
	v_add_nc_u32_e32 v2, s4, v2
	s_delay_alu instid0(VALU_DEP_2) | instskip(NEXT) | instid1(VALU_DEP_1)
	v_add_nc_u32_e32 v3, v0, v3
	v_lshrrev_b32_e32 v3, s23, v3
	s_delay_alu instid0(VALU_DEP_1) | instskip(NEXT) | instid1(VALU_DEP_1)
	v_mad_u64_u32 v[9:10], null, s5, v3, v[0:1]
	v_mul_lo_u32 v3, v9, s11
	s_delay_alu instid0(VALU_DEP_1) | instskip(NEXT) | instid1(VALU_DEP_1)
	v_add_co_u32 v9, s0, v3, v8
	v_add_co_ci_u32_e64 v10, null, 0, 0, s0
	s_delay_alu instid0(VALU_DEP_1) | instskip(SKIP_1) | instid1(VALU_DEP_1)
	v_lshlrev_b64 v[9:10], 1, v[9:10]
	s_waitcnt lgkmcnt(0)
	v_add_co_u32 v11, s0, s24, v9
	s_delay_alu instid0(VALU_DEP_1) | instskip(SKIP_1) | instid1(VALU_DEP_1)
	v_add_co_ci_u32_e64 v12, s0, s25, v10, s0
	v_add_co_u32 v13, s0, s26, v9
	v_add_co_ci_u32_e64 v14, s0, s27, v10, s0
	global_load_u16 v3, v[11:12], off
	v_add_co_u32 v11, s0, s28, v9
	s_delay_alu instid0(VALU_DEP_1) | instskip(SKIP_2) | instid1(VALU_DEP_1)
	v_add_co_ci_u32_e64 v12, s0, s29, v10, s0
	global_load_u16 v15, v[13:14], off
	v_add_co_u32 v13, s0, s30, v9
	v_add_co_ci_u32_e64 v14, s0, s31, v10, s0
	global_load_u16 v16, v[11:12], off
	v_add_co_u32 v11, s0, s12, v9
	s_delay_alu instid0(VALU_DEP_1) | instskip(SKIP_2) | instid1(VALU_DEP_1)
	v_add_co_ci_u32_e64 v12, s0, s13, v10, s0
	global_load_u16 v13, v[13:14], off
	v_add_co_u32 v9, s0, s14, v9
	v_add_co_ci_u32_e64 v10, s0, s15, v10, s0
	global_load_u16 v11, v[11:12], off
	global_load_u16 v9, v[9:10], off
	s_waitcnt vmcnt(5)
	v_cvt_f32_f16_e32 v3, v3
	s_waitcnt vmcnt(4)
	v_cvt_f32_f16_e32 v10, v15
	s_delay_alu instid0(VALU_DEP_2) | instskip(SKIP_2) | instid1(VALU_DEP_2)
	v_add_f32_e32 v1, v1, v3
	s_waitcnt vmcnt(3)
	v_cvt_f32_f16_e32 v3, v16
	v_add_f32_e32 v1, v1, v10
	s_waitcnt vmcnt(2)
	v_cvt_f32_f16_e32 v10, v13
	s_delay_alu instid0(VALU_DEP_2) | instskip(SKIP_2) | instid1(VALU_DEP_2)
	v_add_f32_e32 v1, v1, v3
	s_waitcnt vmcnt(1)
	v_cvt_f32_f16_e32 v3, v11
	v_add_f32_e32 v10, v1, v10
	v_ashrrev_i32_e32 v1, 31, v0
	s_waitcnt vmcnt(0)
	v_cvt_f32_f16_e32 v11, v9
	s_delay_alu instid0(VALU_DEP_3) | instskip(NEXT) | instid1(VALU_DEP_3)
	v_add_f32_e32 v3, v10, v3
	v_lshlrev_b64 v[9:10], 1, v[0:1]
	s_delay_alu instid0(VALU_DEP_2) | instskip(NEXT) | instid1(VALU_DEP_1)
	v_dual_add_f32 v1, v3, v11 :: v_dual_add_nc_u32 v0, s2, v0
	v_cmp_le_i32_e64 s0, s16, v0
	s_delay_alu instid0(VALU_DEP_3) | instskip(NEXT) | instid1(VALU_DEP_3)
	v_add_co_u32 v9, s1, v6, v9
	v_cvt_f16_f32_e32 v1, v1
	v_add_co_ci_u32_e64 v10, s1, v7, v10, s1
	s_delay_alu instid0(VALU_DEP_4)
	s_or_b32 s3, s0, s3
	global_store_b16 v[9:10], v1, off
	s_and_not1_b32 exec_lo, exec_lo, s3
	s_cbranch_execz .LBB75_6
.LBB75_4:                               ; =>This Inner Loop Header: Depth=1
	v_mov_b32_e32 v1, 0
	s_and_saveexec_b32 s1, vcc_lo
	s_cbranch_execz .LBB75_3
; %bb.5:                                ;   in Loop: Header=BB75_4 Depth=1
	v_ashrrev_i32_e32 v3, 31, v2
	s_delay_alu instid0(VALU_DEP_1) | instskip(NEXT) | instid1(VALU_DEP_1)
	v_lshlrev_b64 v[9:10], 1, v[2:3]
	v_add_co_u32 v9, s0, v4, v9
	s_delay_alu instid0(VALU_DEP_1)
	v_add_co_ci_u32_e64 v10, s0, v5, v10, s0
	global_load_u16 v1, v[9:10], off
	s_waitcnt vmcnt(0)
	v_cvt_f32_f16_e32 v1, v1
	s_branch .LBB75_3
.LBB75_6:
	s_nop 0
	s_sendmsg sendmsg(MSG_DEALLOC_VGPRS)
	s_endpgm
	.section	.rodata,"a",@progbits
	.p2align	6, 0x0
	.amdhsa_kernel _ZL11k_bin_bcastIXadL_ZL6op_addffEE6__halfS0_S0_JPKS0_S2_S2_S2_S2_S2_EEvPKT0_PKT1_PT2_iii15HIP_vector_typeIjLj3EESC_SC_SC_SC_iiiiiiiiiiiDpT3_
		.amdhsa_group_segment_fixed_size 0
		.amdhsa_private_segment_fixed_size 0
		.amdhsa_kernarg_size 448
		.amdhsa_user_sgpr_count 13
		.amdhsa_user_sgpr_dispatch_ptr 0
		.amdhsa_user_sgpr_queue_ptr 0
		.amdhsa_user_sgpr_kernarg_segment_ptr 1
		.amdhsa_user_sgpr_dispatch_id 0
		.amdhsa_user_sgpr_private_segment_size 0
		.amdhsa_wavefront_size32 1
		.amdhsa_uses_dynamic_stack 0
		.amdhsa_enable_private_segment 0
		.amdhsa_system_sgpr_workgroup_id_x 1
		.amdhsa_system_sgpr_workgroup_id_y 1
		.amdhsa_system_sgpr_workgroup_id_z 1
		.amdhsa_system_sgpr_workgroup_info 0
		.amdhsa_system_vgpr_workitem_id 2
		.amdhsa_next_free_vgpr 17
		.amdhsa_next_free_sgpr 40
		.amdhsa_reserve_vcc 1
		.amdhsa_float_round_mode_32 0
		.amdhsa_float_round_mode_16_64 0
		.amdhsa_float_denorm_mode_32 3
		.amdhsa_float_denorm_mode_16_64 3
		.amdhsa_dx10_clamp 1
		.amdhsa_ieee_mode 1
		.amdhsa_fp16_overflow 0
		.amdhsa_workgroup_processor_mode 1
		.amdhsa_memory_ordered 1
		.amdhsa_forward_progress 0
		.amdhsa_shared_vgpr_count 0
		.amdhsa_exception_fp_ieee_invalid_op 0
		.amdhsa_exception_fp_denorm_src 0
		.amdhsa_exception_fp_ieee_div_zero 0
		.amdhsa_exception_fp_ieee_overflow 0
		.amdhsa_exception_fp_ieee_underflow 0
		.amdhsa_exception_fp_ieee_inexact 0
		.amdhsa_exception_int_div_zero 0
	.end_amdhsa_kernel
	.section	.text._ZL11k_bin_bcastIXadL_ZL6op_addffEE6__halfS0_S0_JPKS0_S2_S2_S2_S2_S2_EEvPKT0_PKT1_PT2_iii15HIP_vector_typeIjLj3EESC_SC_SC_SC_iiiiiiiiiiiDpT3_,"axG",@progbits,_ZL11k_bin_bcastIXadL_ZL6op_addffEE6__halfS0_S0_JPKS0_S2_S2_S2_S2_S2_EEvPKT0_PKT1_PT2_iii15HIP_vector_typeIjLj3EESC_SC_SC_SC_iiiiiiiiiiiDpT3_,comdat
.Lfunc_end75:
	.size	_ZL11k_bin_bcastIXadL_ZL6op_addffEE6__halfS0_S0_JPKS0_S2_S2_S2_S2_S2_EEvPKT0_PKT1_PT2_iii15HIP_vector_typeIjLj3EESC_SC_SC_SC_iiiiiiiiiiiDpT3_, .Lfunc_end75-_ZL11k_bin_bcastIXadL_ZL6op_addffEE6__halfS0_S0_JPKS0_S2_S2_S2_S2_S2_EEvPKT0_PKT1_PT2_iii15HIP_vector_typeIjLj3EESC_SC_SC_SC_iiiiiiiiiiiDpT3_
                                        ; -- End function
	.section	.AMDGPU.csdata,"",@progbits
; Kernel info:
; codeLenInByte = 1088
; NumSgprs: 42
; NumVgprs: 17
; ScratchSize: 0
; MemoryBound: 0
; FloatMode: 240
; IeeeMode: 1
; LDSByteSize: 0 bytes/workgroup (compile time only)
; SGPRBlocks: 5
; VGPRBlocks: 2
; NumSGPRsForWavesPerEU: 42
; NumVGPRsForWavesPerEU: 17
; Occupancy: 16
; WaveLimiterHint : 1
; COMPUTE_PGM_RSRC2:SCRATCH_EN: 0
; COMPUTE_PGM_RSRC2:USER_SGPR: 13
; COMPUTE_PGM_RSRC2:TRAP_HANDLER: 0
; COMPUTE_PGM_RSRC2:TGID_X_EN: 1
; COMPUTE_PGM_RSRC2:TGID_Y_EN: 1
; COMPUTE_PGM_RSRC2:TGID_Z_EN: 1
; COMPUTE_PGM_RSRC2:TIDIG_COMP_CNT: 2
	.section	.text._ZL19k_bin_bcast_unravelIXadL_ZL6op_addffEE6__halffS0_JPKfS2_S2_S2_S2_S2_EEvPKT0_PKT1_PT2_15HIP_vector_typeIjLj3EESC_SC_jSC_SC_SC_SC_SC_SC_iiiiiiiiiiiDpT3_,"axG",@progbits,_ZL19k_bin_bcast_unravelIXadL_ZL6op_addffEE6__halffS0_JPKfS2_S2_S2_S2_S2_EEvPKT0_PKT1_PT2_15HIP_vector_typeIjLj3EESC_SC_jSC_SC_SC_SC_SC_SC_iiiiiiiiiiiDpT3_,comdat
	.globl	_ZL19k_bin_bcast_unravelIXadL_ZL6op_addffEE6__halffS0_JPKfS2_S2_S2_S2_S2_EEvPKT0_PKT1_PT2_15HIP_vector_typeIjLj3EESC_SC_jSC_SC_SC_SC_SC_SC_iiiiiiiiiiiDpT3_ ; -- Begin function _ZL19k_bin_bcast_unravelIXadL_ZL6op_addffEE6__halffS0_JPKfS2_S2_S2_S2_S2_EEvPKT0_PKT1_PT2_15HIP_vector_typeIjLj3EESC_SC_jSC_SC_SC_SC_SC_SC_iiiiiiiiiiiDpT3_
	.p2align	8
	.type	_ZL19k_bin_bcast_unravelIXadL_ZL6op_addffEE6__halffS0_JPKfS2_S2_S2_S2_S2_EEvPKT0_PKT1_PT2_15HIP_vector_typeIjLj3EESC_SC_jSC_SC_SC_SC_SC_SC_iiiiiiiiiiiDpT3_,@function
_ZL19k_bin_bcast_unravelIXadL_ZL6op_addffEE6__halffS0_JPKfS2_S2_S2_S2_S2_EEvPKT0_PKT1_PT2_15HIP_vector_typeIjLj3EESC_SC_jSC_SC_SC_SC_SC_SC_iiiiiiiiiiiDpT3_: ; @_ZL19k_bin_bcast_unravelIXadL_ZL6op_addffEE6__halffS0_JPKfS2_S2_S2_S2_S2_EEvPKT0_PKT1_PT2_15HIP_vector_typeIjLj3EESC_SC_jSC_SC_SC_SC_SC_SC_iiiiiiiiiiiDpT3_
; %bb.0:
	s_clause 0x1
	s_load_b32 s2, s[0:1], 0xf4
	s_load_b256 s[4:11], s[0:1], 0x38
	s_waitcnt lgkmcnt(0)
	s_and_b32 s2, s2, 0xffff
	s_delay_alu instid0(SALU_CYCLE_1) | instskip(SKIP_3) | instid1(VALU_DEP_1)
	v_mad_u64_u32 v[2:3], null, s15, s2, v[0:1]
	s_clause 0x1
	s_load_b128 s[12:15], s[0:1], 0x18
	s_load_b32 s2, s[0:1], 0x2c
	v_mul_hi_u32 v0, v2, s6
	s_delay_alu instid0(VALU_DEP_1) | instskip(NEXT) | instid1(VALU_DEP_1)
	v_add_nc_u32_e32 v0, v2, v0
	v_lshrrev_b32_e32 v1, s7, v0
	s_delay_alu instid0(VALU_DEP_1) | instskip(NEXT) | instid1(VALU_DEP_1)
	v_mul_lo_u32 v0, v1, s8
	v_sub_nc_u32_e32 v0, v2, v0
	s_delay_alu instid0(VALU_DEP_1) | instskip(NEXT) | instid1(VALU_DEP_1)
	v_mul_hi_u32 v2, v0, s9
	v_add_nc_u32_e32 v2, v0, v2
	s_delay_alu instid0(VALU_DEP_1) | instskip(NEXT) | instid1(VALU_DEP_1)
	v_lshrrev_b32_e32 v2, s10, v2
	v_mul_lo_u32 v3, v2, s11
	v_cmp_gt_u32_e64 s3, s4, v2
	v_cmp_gt_u32_e64 s4, s5, v1
	s_delay_alu instid0(VALU_DEP_3) | instskip(SKIP_1) | instid1(VALU_DEP_1)
	v_sub_nc_u32_e32 v0, v0, v3
	s_waitcnt lgkmcnt(0)
	v_mul_hi_u32 v3, v0, s12
	s_delay_alu instid0(VALU_DEP_1) | instskip(NEXT) | instid1(VALU_DEP_1)
	v_add_nc_u32_e32 v3, v0, v3
	v_lshrrev_b32_e32 v3, s13, v3
	s_delay_alu instid0(VALU_DEP_1) | instskip(SKIP_1) | instid1(VALU_DEP_2)
	v_mul_lo_u32 v4, v3, s14
	v_cmp_gt_u32_e64 s2, s2, v3
	v_sub_nc_u32_e32 v0, v0, v4
	s_delay_alu instid0(VALU_DEP_1) | instskip(NEXT) | instid1(VALU_DEP_3)
	v_cmp_gt_u32_e32 vcc_lo, s14, v0
	s_and_b32 s2, vcc_lo, s2
	s_delay_alu instid0(SALU_CYCLE_1) | instskip(NEXT) | instid1(SALU_CYCLE_1)
	s_and_b32 s2, s2, s3
	s_and_b32 s2, s4, s2
	s_delay_alu instid0(SALU_CYCLE_1)
	s_and_saveexec_b32 s3, s2
	s_cbranch_execz .LBB76_5
; %bb.1:
	s_clause 0x4
	s_load_b64 s[2:3], s[0:1], 0x0
	s_load_b128 s[20:23], s[0:1], 0xa8
	s_load_b256 s[4:11], s[0:1], 0x88
	s_load_b128 s[24:27], s[0:1], 0x78
	s_load_b256 s[12:19], s[0:1], 0x58
	s_waitcnt lgkmcnt(0)
	s_cmp_eq_u64 s[2:3], 0
	s_cbranch_scc1 .LBB76_3
; %bb.2:
	v_mul_lo_u32 v4, v1, s10
	v_mul_lo_u32 v6, v2, s9
	;; [unrolled: 1-line block ×3, first 2 shown]
	v_mov_b32_e32 v5, 0
	s_delay_alu instid0(VALU_DEP_2) | instskip(NEXT) | instid1(VALU_DEP_1)
	v_add3_u32 v4, v6, v4, v7
	v_lshlrev_b64 v[6:7], 1, v[4:5]
	v_mul_lo_u32 v4, v0, s7
	s_delay_alu instid0(VALU_DEP_2) | instskip(NEXT) | instid1(VALU_DEP_3)
	v_add_co_u32 v6, vcc_lo, s2, v6
	v_add_co_ci_u32_e32 v7, vcc_lo, s3, v7, vcc_lo
	s_delay_alu instid0(VALU_DEP_3) | instskip(NEXT) | instid1(VALU_DEP_1)
	v_lshlrev_b64 v[4:5], 1, v[4:5]
	v_add_co_u32 v4, vcc_lo, v6, v4
	s_delay_alu instid0(VALU_DEP_2)
	v_add_co_ci_u32_e32 v5, vcc_lo, v7, v5, vcc_lo
	global_load_u16 v4, v[4:5], off
	s_waitcnt vmcnt(0)
	v_cvt_f32_f16_e32 v4, v4
	s_branch .LBB76_4
.LBB76_3:
	v_mov_b32_e32 v4, 0
.LBB76_4:
	v_mul_hi_u32 v5, s25, v1
	v_mul_hi_u32 v6, s18, v2
	;; [unrolled: 1-line block ×4, first 2 shown]
	s_delay_alu instid0(VALU_DEP_4) | instskip(NEXT) | instid1(VALU_DEP_4)
	v_add_nc_u32_e32 v5, v1, v5
	v_add_nc_u32_e32 v6, v2, v6
	s_delay_alu instid0(VALU_DEP_4) | instskip(NEXT) | instid1(VALU_DEP_4)
	v_add_nc_u32_e32 v7, v3, v7
	v_add_nc_u32_e32 v8, v0, v8
	s_delay_alu instid0(VALU_DEP_4) | instskip(NEXT) | instid1(VALU_DEP_4)
	v_lshrrev_b32_e32 v5, s26, v5
	v_lshrrev_b32_e32 v6, s19, v6
	s_delay_alu instid0(VALU_DEP_4) | instskip(NEXT) | instid1(VALU_DEP_4)
	v_lshrrev_b32_e32 v7, s16, v7
	v_lshrrev_b32_e32 v8, s13, v8
	s_delay_alu instid0(VALU_DEP_4) | instskip(NEXT) | instid1(VALU_DEP_4)
	v_mul_lo_u32 v5, v5, s27
	v_mul_lo_u32 v6, v6, s24
	s_delay_alu instid0(VALU_DEP_4) | instskip(NEXT) | instid1(VALU_DEP_4)
	v_mul_lo_u32 v7, v7, s17
	v_mul_lo_u32 v8, v8, s14
	s_load_b128 s[16:19], s[0:1], 0xd8
	s_delay_alu instid0(VALU_DEP_4) | instskip(NEXT) | instid1(VALU_DEP_4)
	v_sub_nc_u32_e32 v5, v1, v5
	v_sub_nc_u32_e32 v6, v2, v6
	s_delay_alu instid0(VALU_DEP_4) | instskip(NEXT) | instid1(VALU_DEP_4)
	v_sub_nc_u32_e32 v7, v3, v7
	v_sub_nc_u32_e32 v8, v0, v8
	v_mul_lo_u32 v1, v1, s6
	v_mul_lo_u32 v5, v5, s22
	;; [unrolled: 1-line block ×5, first 2 shown]
	s_clause 0x1
	s_load_b256 s[8:15], s[0:1], 0xb8
	s_load_b64 s[0:1], s[0:1], 0x10
	v_mul_lo_u32 v2, v2, s5
	s_delay_alu instid0(VALU_DEP_3) | instskip(NEXT) | instid1(VALU_DEP_3)
	v_add3_u32 v5, v6, v5, v7
	v_ashrrev_i32_e32 v6, 31, v8
	s_delay_alu instid0(VALU_DEP_2) | instskip(SKIP_1) | instid1(VALU_DEP_2)
	v_ashrrev_i32_e32 v7, 31, v5
	v_add_co_u32 v5, vcc_lo, v8, v5
	v_add_co_ci_u32_e32 v6, vcc_lo, v6, v7, vcc_lo
	s_delay_alu instid0(VALU_DEP_1) | instskip(SKIP_1) | instid1(VALU_DEP_1)
	v_lshlrev_b64 v[5:6], 2, v[5:6]
	s_waitcnt lgkmcnt(0)
	v_add_co_u32 v7, vcc_lo, s8, v5
	s_delay_alu instid0(VALU_DEP_2)
	v_add_co_ci_u32_e32 v8, vcc_lo, s9, v6, vcc_lo
	v_add_co_u32 v9, vcc_lo, s10, v5
	v_add_co_ci_u32_e32 v10, vcc_lo, s11, v6, vcc_lo
	global_load_b32 v11, v[7:8], off
	v_add_co_u32 v7, vcc_lo, s12, v5
	v_add_co_ci_u32_e32 v8, vcc_lo, s13, v6, vcc_lo
	global_load_b32 v12, v[9:10], off
	;; [unrolled: 3-line block ×5, first 2 shown]
	global_load_b32 v5, v[5:6], off
	v_mul_lo_u32 v6, v3, s4
	v_mov_b32_e32 v3, 0
	s_delay_alu instid0(VALU_DEP_2) | instskip(NEXT) | instid1(VALU_DEP_2)
	v_add3_u32 v2, v2, v1, v6
	v_mov_b32_e32 v1, v3
	s_delay_alu instid0(VALU_DEP_2) | instskip(NEXT) | instid1(VALU_DEP_2)
	v_lshlrev_b64 v[2:3], 1, v[2:3]
	v_lshlrev_b64 v[0:1], 1, v[0:1]
	s_delay_alu instid0(VALU_DEP_2) | instskip(NEXT) | instid1(VALU_DEP_3)
	v_add_co_u32 v2, vcc_lo, s0, v2
	v_add_co_ci_u32_e32 v3, vcc_lo, s1, v3, vcc_lo
	s_delay_alu instid0(VALU_DEP_2) | instskip(NEXT) | instid1(VALU_DEP_2)
	v_add_co_u32 v0, vcc_lo, v2, v0
	v_add_co_ci_u32_e32 v1, vcc_lo, v3, v1, vcc_lo
	s_waitcnt vmcnt(5)
	v_add_f32_e32 v4, v4, v11
	s_waitcnt vmcnt(4)
	s_delay_alu instid0(VALU_DEP_1) | instskip(SKIP_1) | instid1(VALU_DEP_1)
	v_add_f32_e32 v4, v4, v12
	s_waitcnt vmcnt(3)
	v_add_f32_e32 v4, v4, v13
	s_waitcnt vmcnt(2)
	s_delay_alu instid0(VALU_DEP_1) | instskip(SKIP_1) | instid1(VALU_DEP_1)
	v_add_f32_e32 v4, v4, v9
	s_waitcnt vmcnt(1)
	v_add_f32_e32 v4, v4, v7
	s_waitcnt vmcnt(0)
	s_delay_alu instid0(VALU_DEP_1) | instskip(NEXT) | instid1(VALU_DEP_1)
	v_add_f32_e32 v4, v4, v5
	v_cvt_f16_f32_e32 v4, v4
	global_store_b16 v[0:1], v4, off
.LBB76_5:
	s_nop 0
	s_sendmsg sendmsg(MSG_DEALLOC_VGPRS)
	s_endpgm
	.section	.rodata,"a",@progbits
	.p2align	6, 0x0
	.amdhsa_kernel _ZL19k_bin_bcast_unravelIXadL_ZL6op_addffEE6__halffS0_JPKfS2_S2_S2_S2_S2_EEvPKT0_PKT1_PT2_15HIP_vector_typeIjLj3EESC_SC_jSC_SC_SC_SC_SC_SC_iiiiiiiiiiiDpT3_
		.amdhsa_group_segment_fixed_size 0
		.amdhsa_private_segment_fixed_size 0
		.amdhsa_kernarg_size 488
		.amdhsa_user_sgpr_count 15
		.amdhsa_user_sgpr_dispatch_ptr 0
		.amdhsa_user_sgpr_queue_ptr 0
		.amdhsa_user_sgpr_kernarg_segment_ptr 1
		.amdhsa_user_sgpr_dispatch_id 0
		.amdhsa_user_sgpr_private_segment_size 0
		.amdhsa_wavefront_size32 1
		.amdhsa_uses_dynamic_stack 0
		.amdhsa_enable_private_segment 0
		.amdhsa_system_sgpr_workgroup_id_x 1
		.amdhsa_system_sgpr_workgroup_id_y 0
		.amdhsa_system_sgpr_workgroup_id_z 0
		.amdhsa_system_sgpr_workgroup_info 0
		.amdhsa_system_vgpr_workitem_id 0
		.amdhsa_next_free_vgpr 14
		.amdhsa_next_free_sgpr 28
		.amdhsa_reserve_vcc 1
		.amdhsa_float_round_mode_32 0
		.amdhsa_float_round_mode_16_64 0
		.amdhsa_float_denorm_mode_32 3
		.amdhsa_float_denorm_mode_16_64 3
		.amdhsa_dx10_clamp 1
		.amdhsa_ieee_mode 1
		.amdhsa_fp16_overflow 0
		.amdhsa_workgroup_processor_mode 1
		.amdhsa_memory_ordered 1
		.amdhsa_forward_progress 0
		.amdhsa_shared_vgpr_count 0
		.amdhsa_exception_fp_ieee_invalid_op 0
		.amdhsa_exception_fp_denorm_src 0
		.amdhsa_exception_fp_ieee_div_zero 0
		.amdhsa_exception_fp_ieee_overflow 0
		.amdhsa_exception_fp_ieee_underflow 0
		.amdhsa_exception_fp_ieee_inexact 0
		.amdhsa_exception_int_div_zero 0
	.end_amdhsa_kernel
	.section	.text._ZL19k_bin_bcast_unravelIXadL_ZL6op_addffEE6__halffS0_JPKfS2_S2_S2_S2_S2_EEvPKT0_PKT1_PT2_15HIP_vector_typeIjLj3EESC_SC_jSC_SC_SC_SC_SC_SC_iiiiiiiiiiiDpT3_,"axG",@progbits,_ZL19k_bin_bcast_unravelIXadL_ZL6op_addffEE6__halffS0_JPKfS2_S2_S2_S2_S2_EEvPKT0_PKT1_PT2_15HIP_vector_typeIjLj3EESC_SC_jSC_SC_SC_SC_SC_SC_iiiiiiiiiiiDpT3_,comdat
.Lfunc_end76:
	.size	_ZL19k_bin_bcast_unravelIXadL_ZL6op_addffEE6__halffS0_JPKfS2_S2_S2_S2_S2_EEvPKT0_PKT1_PT2_15HIP_vector_typeIjLj3EESC_SC_jSC_SC_SC_SC_SC_SC_iiiiiiiiiiiDpT3_, .Lfunc_end76-_ZL19k_bin_bcast_unravelIXadL_ZL6op_addffEE6__halffS0_JPKfS2_S2_S2_S2_S2_EEvPKT0_PKT1_PT2_15HIP_vector_typeIjLj3EESC_SC_jSC_SC_SC_SC_SC_SC_iiiiiiiiiiiDpT3_
                                        ; -- End function
	.section	.AMDGPU.csdata,"",@progbits
; Kernel info:
; codeLenInByte = 980
; NumSgprs: 30
; NumVgprs: 14
; ScratchSize: 0
; MemoryBound: 0
; FloatMode: 240
; IeeeMode: 1
; LDSByteSize: 0 bytes/workgroup (compile time only)
; SGPRBlocks: 3
; VGPRBlocks: 1
; NumSGPRsForWavesPerEU: 30
; NumVGPRsForWavesPerEU: 14
; Occupancy: 16
; WaveLimiterHint : 1
; COMPUTE_PGM_RSRC2:SCRATCH_EN: 0
; COMPUTE_PGM_RSRC2:USER_SGPR: 15
; COMPUTE_PGM_RSRC2:TRAP_HANDLER: 0
; COMPUTE_PGM_RSRC2:TGID_X_EN: 1
; COMPUTE_PGM_RSRC2:TGID_Y_EN: 0
; COMPUTE_PGM_RSRC2:TGID_Z_EN: 0
; COMPUTE_PGM_RSRC2:TIDIG_COMP_CNT: 0
	.section	.text._ZL11k_bin_bcastIXadL_ZL6op_addffEE6__halffS0_JPKfS2_S2_S2_S2_S2_EEvPKT0_PKT1_PT2_iii15HIP_vector_typeIjLj3EESC_SC_SC_SC_iiiiiiiiiiiDpT3_,"axG",@progbits,_ZL11k_bin_bcastIXadL_ZL6op_addffEE6__halffS0_JPKfS2_S2_S2_S2_S2_EEvPKT0_PKT1_PT2_iii15HIP_vector_typeIjLj3EESC_SC_SC_SC_iiiiiiiiiiiDpT3_,comdat
	.globl	_ZL11k_bin_bcastIXadL_ZL6op_addffEE6__halffS0_JPKfS2_S2_S2_S2_S2_EEvPKT0_PKT1_PT2_iii15HIP_vector_typeIjLj3EESC_SC_SC_SC_iiiiiiiiiiiDpT3_ ; -- Begin function _ZL11k_bin_bcastIXadL_ZL6op_addffEE6__halffS0_JPKfS2_S2_S2_S2_S2_EEvPKT0_PKT1_PT2_iii15HIP_vector_typeIjLj3EESC_SC_SC_SC_iiiiiiiiiiiDpT3_
	.p2align	8
	.type	_ZL11k_bin_bcastIXadL_ZL6op_addffEE6__halffS0_JPKfS2_S2_S2_S2_S2_EEvPKT0_PKT1_PT2_iii15HIP_vector_typeIjLj3EESC_SC_SC_SC_iiiiiiiiiiiDpT3_,@function
_ZL11k_bin_bcastIXadL_ZL6op_addffEE6__halffS0_JPKfS2_S2_S2_S2_S2_EEvPKT0_PKT1_PT2_iii15HIP_vector_typeIjLj3EESC_SC_SC_SC_iiiiiiiiiiiDpT3_: ; @_ZL11k_bin_bcastIXadL_ZL6op_addffEE6__halffS0_JPKfS2_S2_S2_S2_S2_EEvPKT0_PKT1_PT2_iii15HIP_vector_typeIjLj3EESC_SC_SC_SC_iiiiiiiiiiiDpT3_
; %bb.0:
	s_clause 0x1
	s_load_b64 s[2:3], s[0:1], 0xcc
	s_load_b256 s[16:23], s[0:1], 0x18
	v_bfe_u32 v1, v0, 20, 10
	s_add_u32 s34, s0, 0xc0
	s_addc_u32 s35, s1, 0
	s_waitcnt lgkmcnt(0)
	s_and_b32 s3, s3, 0xffff
	s_delay_alu instid0(SALU_CYCLE_1) | instskip(SKIP_3) | instid1(VALU_DEP_3)
	v_mad_u64_u32 v[4:5], null, s15, s3, v[1:2]
	v_and_b32_e32 v2, 0x3ff, v0
	v_bfe_u32 v5, v0, 10, 10
	s_lshr_b32 s3, s2, 16
	v_mul_hi_u32 v1, v4, s19
	s_delay_alu instid0(VALU_DEP_1) | instskip(NEXT) | instid1(VALU_DEP_1)
	v_add_nc_u32_e32 v1, v4, v1
	v_lshrrev_b32_e32 v3, s20, v1
	s_and_b32 s20, s2, 0xffff
	s_delay_alu instid0(VALU_DEP_1) | instskip(SKIP_1) | instid1(VALU_DEP_2)
	v_mul_lo_u32 v6, v3, s21
	v_mad_u64_u32 v[0:1], null, s13, s20, v[2:3]
	v_mad_u64_u32 v[1:2], null, s14, s3, v[5:6]
	v_sub_nc_u32_e32 v4, v4, v6
	s_delay_alu instid0(VALU_DEP_3) | instskip(SKIP_1) | instid1(VALU_DEP_3)
	v_cmp_gt_u32_e32 vcc_lo, s16, v0
	v_cmp_gt_u32_e64 s3, s18, v3
	v_cmp_gt_u32_e64 s4, s21, v4
	;; [unrolled: 1-line block ×3, first 2 shown]
	s_delay_alu instid0(VALU_DEP_1)
	s_and_b32 s2, vcc_lo, s2
	s_delay_alu instid0(VALU_DEP_3) | instid1(SALU_CYCLE_1)
	s_and_b32 s2, s2, s3
	s_delay_alu instid0(VALU_DEP_2) | instid1(SALU_CYCLE_1)
	s_and_b32 s2, s2, s4
	s_delay_alu instid0(SALU_CYCLE_1)
	s_and_saveexec_b32 s3, s2
	s_cbranch_execz .LBB77_6
; %bb.1:
	v_cmp_gt_i32_e32 vcc_lo, s16, v0
	s_and_b32 exec_lo, exec_lo, vcc_lo
	s_cbranch_execz .LBB77_6
; %bb.2:
	s_clause 0x2
	s_load_b256 s[24:31], s[0:1], 0x3c
	s_load_b256 s[4:11], s[0:1], 0x60
	s_load_b128 s[36:39], s[0:1], 0x80
	s_load_b32 s17, s[34:35], 0x0
	s_clause 0x4
	s_load_b32 s21, s[0:1], 0x5c
	s_load_b64 s[18:19], s[0:1], 0x0
	s_load_b32 s33, s[0:1], 0x38
	s_load_b64 s[2:3], s[0:1], 0x10
	s_load_b128 s[12:15], s[0:1], 0xb0
	s_waitcnt lgkmcnt(0)
	v_mul_hi_u32 v2, s24, v1
	v_mul_hi_u32 v5, s27, v3
	;; [unrolled: 1-line block ×3, first 2 shown]
	v_mul_lo_u32 v9, v4, s10
	v_mul_lo_u32 v10, v3, s9
	;; [unrolled: 1-line block ×3, first 2 shown]
	v_mov_b32_e32 v6, 0
	v_mul_lo_u32 v12, v4, s6
	v_add_nc_u32_e32 v2, v1, v2
	v_add_nc_u32_e32 v5, v3, v5
	s_delay_alu instid0(VALU_DEP_4) | instskip(SKIP_1) | instid1(VALU_DEP_4)
	v_dual_mov_b32 v8, v6 :: v_dual_add_nc_u32 v7, v4, v7
	v_mul_lo_u32 v13, v3, s5
	v_lshrrev_b32_e32 v2, s25, v2
	s_delay_alu instid0(VALU_DEP_4) | instskip(NEXT) | instid1(VALU_DEP_4)
	v_lshrrev_b32_e32 v15, s28, v5
	v_lshrrev_b32_e32 v16, s31, v7
	v_add3_u32 v5, v10, v11, v9
	v_mul_lo_u32 v14, v1, s4
	v_mul_lo_u32 v9, v2, s26
	;; [unrolled: 1-line block ×4, first 2 shown]
	v_lshlrev_b64 v[5:6], 1, v[5:6]
	s_load_b256 s[24:31], s[0:1], 0x90
	s_cmp_lg_u64 s[18:19], 0
	v_mul_lo_u32 v2, s7, v0
	v_add3_u32 v7, v13, v14, v12
	v_sub_nc_u32_e32 v1, v1, v9
	v_sub_nc_u32_e32 v3, v3, v10
	;; [unrolled: 1-line block ×3, first 2 shown]
	v_add_co_u32 v9, vcc_lo, s18, v5
	v_add_co_ci_u32_e32 v5, vcc_lo, s19, v6, vcc_lo
	v_lshlrev_b64 v[7:8], 1, v[7:8]
	s_delay_alu instid0(VALU_DEP_4)
	v_mul_lo_u32 v10, v4, s38
	v_mul_lo_u32 v3, v3, s37
	;; [unrolled: 1-line block ×3, first 2 shown]
	s_cselect_b32 vcc_lo, -1, 0
	s_sub_i32 s5, 0, s33
	v_cndmask_b32_e32 v5, 0, v5, vcc_lo
	v_cndmask_b32_e32 v4, 0, v9, vcc_lo
	v_add_co_u32 v6, vcc_lo, s2, v7
	v_add_co_ci_u32_e32 v7, vcc_lo, s3, v8, vcc_lo
	s_delay_alu instid0(VALU_DEP_3)
	v_cmp_ne_u64_e32 vcc_lo, 0, v[4:5]
	v_add3_u32 v8, v3, v10, v1
	s_mul_i32 s2, s17, s20
	s_mov_b32 s3, 0
	s_mul_i32 s4, s2, s7
	s_branch .LBB77_4
.LBB77_3:                               ;   in Loop: Header=BB77_4 Depth=1
	s_or_b32 exec_lo, exec_lo, s1
	v_mul_hi_u32 v3, s22, v0
	v_add_nc_u32_e32 v2, s4, v2
	s_delay_alu instid0(VALU_DEP_2) | instskip(NEXT) | instid1(VALU_DEP_1)
	v_add_nc_u32_e32 v3, v0, v3
	v_lshrrev_b32_e32 v3, s23, v3
	s_delay_alu instid0(VALU_DEP_1) | instskip(NEXT) | instid1(VALU_DEP_1)
	v_mad_u64_u32 v[9:10], null, s5, v3, v[0:1]
	v_mul_lo_u32 v3, v9, s11
	s_delay_alu instid0(VALU_DEP_1) | instskip(NEXT) | instid1(VALU_DEP_1)
	v_add_co_u32 v9, s0, v3, v8
	v_add_co_ci_u32_e64 v10, null, 0, 0, s0
	s_delay_alu instid0(VALU_DEP_1) | instskip(SKIP_1) | instid1(VALU_DEP_1)
	v_lshlrev_b64 v[9:10], 2, v[9:10]
	s_waitcnt lgkmcnt(0)
	v_add_co_u32 v11, s0, s24, v9
	s_delay_alu instid0(VALU_DEP_1) | instskip(SKIP_1) | instid1(VALU_DEP_1)
	v_add_co_ci_u32_e64 v12, s0, s25, v10, s0
	v_add_co_u32 v13, s0, s26, v9
	v_add_co_ci_u32_e64 v14, s0, s27, v10, s0
	global_load_b32 v3, v[11:12], off
	v_add_co_u32 v11, s0, s28, v9
	s_delay_alu instid0(VALU_DEP_1) | instskip(SKIP_2) | instid1(VALU_DEP_1)
	v_add_co_ci_u32_e64 v12, s0, s29, v10, s0
	global_load_b32 v15, v[13:14], off
	v_add_co_u32 v13, s0, s30, v9
	v_add_co_ci_u32_e64 v14, s0, s31, v10, s0
	global_load_b32 v16, v[11:12], off
	v_add_co_u32 v11, s0, s12, v9
	s_delay_alu instid0(VALU_DEP_1) | instskip(SKIP_2) | instid1(VALU_DEP_1)
	v_add_co_ci_u32_e64 v12, s0, s13, v10, s0
	global_load_b32 v13, v[13:14], off
	v_add_co_u32 v9, s0, s14, v9
	v_add_co_ci_u32_e64 v10, s0, s15, v10, s0
	global_load_b32 v11, v[11:12], off
	global_load_b32 v12, v[9:10], off
	s_waitcnt vmcnt(5)
	v_add_f32_e32 v1, v1, v3
	s_waitcnt vmcnt(4)
	s_delay_alu instid0(VALU_DEP_1) | instskip(SKIP_1) | instid1(VALU_DEP_1)
	v_add_f32_e32 v1, v1, v15
	s_waitcnt vmcnt(3)
	v_add_f32_e32 v1, v1, v16
	s_waitcnt vmcnt(2)
	s_delay_alu instid0(VALU_DEP_1) | instskip(SKIP_2) | instid1(VALU_DEP_2)
	v_add_f32_e32 v3, v1, v13
	v_ashrrev_i32_e32 v1, 31, v0
	s_waitcnt vmcnt(1)
	v_add_f32_e32 v3, v3, v11
	s_delay_alu instid0(VALU_DEP_2) | instskip(SKIP_2) | instid1(VALU_DEP_3)
	v_lshlrev_b64 v[9:10], 1, v[0:1]
	v_add_nc_u32_e32 v0, s2, v0
	s_waitcnt vmcnt(0)
	v_add_f32_e32 v1, v3, v12
	s_delay_alu instid0(VALU_DEP_2) | instskip(NEXT) | instid1(VALU_DEP_4)
	v_cmp_le_i32_e64 s0, s16, v0
	v_add_co_u32 v9, s1, v6, v9
	s_delay_alu instid0(VALU_DEP_3) | instskip(SKIP_1) | instid1(VALU_DEP_4)
	v_cvt_f16_f32_e32 v1, v1
	v_add_co_ci_u32_e64 v10, s1, v7, v10, s1
	s_or_b32 s3, s0, s3
	global_store_b16 v[9:10], v1, off
	s_and_not1_b32 exec_lo, exec_lo, s3
	s_cbranch_execz .LBB77_6
.LBB77_4:                               ; =>This Inner Loop Header: Depth=1
	v_mov_b32_e32 v1, 0
	s_and_saveexec_b32 s1, vcc_lo
	s_cbranch_execz .LBB77_3
; %bb.5:                                ;   in Loop: Header=BB77_4 Depth=1
	v_ashrrev_i32_e32 v3, 31, v2
	s_delay_alu instid0(VALU_DEP_1) | instskip(NEXT) | instid1(VALU_DEP_1)
	v_lshlrev_b64 v[9:10], 1, v[2:3]
	v_add_co_u32 v9, s0, v4, v9
	s_delay_alu instid0(VALU_DEP_1)
	v_add_co_ci_u32_e64 v10, s0, v5, v10, s0
	global_load_u16 v1, v[9:10], off
	s_waitcnt vmcnt(0)
	v_cvt_f32_f16_e32 v1, v1
	s_branch .LBB77_3
.LBB77_6:
	s_nop 0
	s_sendmsg sendmsg(MSG_DEALLOC_VGPRS)
	s_endpgm
	.section	.rodata,"a",@progbits
	.p2align	6, 0x0
	.amdhsa_kernel _ZL11k_bin_bcastIXadL_ZL6op_addffEE6__halffS0_JPKfS2_S2_S2_S2_S2_EEvPKT0_PKT1_PT2_iii15HIP_vector_typeIjLj3EESC_SC_SC_SC_iiiiiiiiiiiDpT3_
		.amdhsa_group_segment_fixed_size 0
		.amdhsa_private_segment_fixed_size 0
		.amdhsa_kernarg_size 448
		.amdhsa_user_sgpr_count 13
		.amdhsa_user_sgpr_dispatch_ptr 0
		.amdhsa_user_sgpr_queue_ptr 0
		.amdhsa_user_sgpr_kernarg_segment_ptr 1
		.amdhsa_user_sgpr_dispatch_id 0
		.amdhsa_user_sgpr_private_segment_size 0
		.amdhsa_wavefront_size32 1
		.amdhsa_uses_dynamic_stack 0
		.amdhsa_enable_private_segment 0
		.amdhsa_system_sgpr_workgroup_id_x 1
		.amdhsa_system_sgpr_workgroup_id_y 1
		.amdhsa_system_sgpr_workgroup_id_z 1
		.amdhsa_system_sgpr_workgroup_info 0
		.amdhsa_system_vgpr_workitem_id 2
		.amdhsa_next_free_vgpr 17
		.amdhsa_next_free_sgpr 40
		.amdhsa_reserve_vcc 1
		.amdhsa_float_round_mode_32 0
		.amdhsa_float_round_mode_16_64 0
		.amdhsa_float_denorm_mode_32 3
		.amdhsa_float_denorm_mode_16_64 3
		.amdhsa_dx10_clamp 1
		.amdhsa_ieee_mode 1
		.amdhsa_fp16_overflow 0
		.amdhsa_workgroup_processor_mode 1
		.amdhsa_memory_ordered 1
		.amdhsa_forward_progress 0
		.amdhsa_shared_vgpr_count 0
		.amdhsa_exception_fp_ieee_invalid_op 0
		.amdhsa_exception_fp_denorm_src 0
		.amdhsa_exception_fp_ieee_div_zero 0
		.amdhsa_exception_fp_ieee_overflow 0
		.amdhsa_exception_fp_ieee_underflow 0
		.amdhsa_exception_fp_ieee_inexact 0
		.amdhsa_exception_int_div_zero 0
	.end_amdhsa_kernel
	.section	.text._ZL11k_bin_bcastIXadL_ZL6op_addffEE6__halffS0_JPKfS2_S2_S2_S2_S2_EEvPKT0_PKT1_PT2_iii15HIP_vector_typeIjLj3EESC_SC_SC_SC_iiiiiiiiiiiDpT3_,"axG",@progbits,_ZL11k_bin_bcastIXadL_ZL6op_addffEE6__halffS0_JPKfS2_S2_S2_S2_S2_EEvPKT0_PKT1_PT2_iii15HIP_vector_typeIjLj3EESC_SC_SC_SC_iiiiiiiiiiiDpT3_,comdat
.Lfunc_end77:
	.size	_ZL11k_bin_bcastIXadL_ZL6op_addffEE6__halffS0_JPKfS2_S2_S2_S2_S2_EEvPKT0_PKT1_PT2_iii15HIP_vector_typeIjLj3EESC_SC_SC_SC_iiiiiiiiiiiDpT3_, .Lfunc_end77-_ZL11k_bin_bcastIXadL_ZL6op_addffEE6__halffS0_JPKfS2_S2_S2_S2_S2_EEvPKT0_PKT1_PT2_iii15HIP_vector_typeIjLj3EESC_SC_SC_SC_iiiiiiiiiiiDpT3_
                                        ; -- End function
	.section	.AMDGPU.csdata,"",@progbits
; Kernel info:
; codeLenInByte = 1060
; NumSgprs: 42
; NumVgprs: 17
; ScratchSize: 0
; MemoryBound: 0
; FloatMode: 240
; IeeeMode: 1
; LDSByteSize: 0 bytes/workgroup (compile time only)
; SGPRBlocks: 5
; VGPRBlocks: 2
; NumSGPRsForWavesPerEU: 42
; NumVGPRsForWavesPerEU: 17
; Occupancy: 16
; WaveLimiterHint : 1
; COMPUTE_PGM_RSRC2:SCRATCH_EN: 0
; COMPUTE_PGM_RSRC2:USER_SGPR: 13
; COMPUTE_PGM_RSRC2:TRAP_HANDLER: 0
; COMPUTE_PGM_RSRC2:TGID_X_EN: 1
; COMPUTE_PGM_RSRC2:TGID_Y_EN: 1
; COMPUTE_PGM_RSRC2:TGID_Z_EN: 1
; COMPUTE_PGM_RSRC2:TIDIG_COMP_CNT: 2
	.section	.text._ZL19k_bin_bcast_unravelIXadL_ZL6op_addffEE6__halfffJPKfS2_S2_S2_S2_S2_EEvPKT0_PKT1_PT2_15HIP_vector_typeIjLj3EESC_SC_jSC_SC_SC_SC_SC_SC_iiiiiiiiiiiDpT3_,"axG",@progbits,_ZL19k_bin_bcast_unravelIXadL_ZL6op_addffEE6__halfffJPKfS2_S2_S2_S2_S2_EEvPKT0_PKT1_PT2_15HIP_vector_typeIjLj3EESC_SC_jSC_SC_SC_SC_SC_SC_iiiiiiiiiiiDpT3_,comdat
	.globl	_ZL19k_bin_bcast_unravelIXadL_ZL6op_addffEE6__halfffJPKfS2_S2_S2_S2_S2_EEvPKT0_PKT1_PT2_15HIP_vector_typeIjLj3EESC_SC_jSC_SC_SC_SC_SC_SC_iiiiiiiiiiiDpT3_ ; -- Begin function _ZL19k_bin_bcast_unravelIXadL_ZL6op_addffEE6__halfffJPKfS2_S2_S2_S2_S2_EEvPKT0_PKT1_PT2_15HIP_vector_typeIjLj3EESC_SC_jSC_SC_SC_SC_SC_SC_iiiiiiiiiiiDpT3_
	.p2align	8
	.type	_ZL19k_bin_bcast_unravelIXadL_ZL6op_addffEE6__halfffJPKfS2_S2_S2_S2_S2_EEvPKT0_PKT1_PT2_15HIP_vector_typeIjLj3EESC_SC_jSC_SC_SC_SC_SC_SC_iiiiiiiiiiiDpT3_,@function
_ZL19k_bin_bcast_unravelIXadL_ZL6op_addffEE6__halfffJPKfS2_S2_S2_S2_S2_EEvPKT0_PKT1_PT2_15HIP_vector_typeIjLj3EESC_SC_jSC_SC_SC_SC_SC_SC_iiiiiiiiiiiDpT3_: ; @_ZL19k_bin_bcast_unravelIXadL_ZL6op_addffEE6__halfffJPKfS2_S2_S2_S2_S2_EEvPKT0_PKT1_PT2_15HIP_vector_typeIjLj3EESC_SC_jSC_SC_SC_SC_SC_SC_iiiiiiiiiiiDpT3_
; %bb.0:
	s_clause 0x1
	s_load_b32 s2, s[0:1], 0xf4
	s_load_b256 s[4:11], s[0:1], 0x38
	s_waitcnt lgkmcnt(0)
	s_and_b32 s2, s2, 0xffff
	s_delay_alu instid0(SALU_CYCLE_1) | instskip(SKIP_3) | instid1(VALU_DEP_1)
	v_mad_u64_u32 v[2:3], null, s15, s2, v[0:1]
	s_clause 0x1
	s_load_b128 s[12:15], s[0:1], 0x18
	s_load_b32 s2, s[0:1], 0x2c
	v_mul_hi_u32 v0, v2, s6
	s_delay_alu instid0(VALU_DEP_1) | instskip(NEXT) | instid1(VALU_DEP_1)
	v_add_nc_u32_e32 v0, v2, v0
	v_lshrrev_b32_e32 v1, s7, v0
	s_delay_alu instid0(VALU_DEP_1) | instskip(NEXT) | instid1(VALU_DEP_1)
	v_mul_lo_u32 v0, v1, s8
	v_sub_nc_u32_e32 v0, v2, v0
	s_delay_alu instid0(VALU_DEP_1) | instskip(NEXT) | instid1(VALU_DEP_1)
	v_mul_hi_u32 v2, v0, s9
	v_add_nc_u32_e32 v2, v0, v2
	s_delay_alu instid0(VALU_DEP_1) | instskip(NEXT) | instid1(VALU_DEP_1)
	v_lshrrev_b32_e32 v2, s10, v2
	v_mul_lo_u32 v3, v2, s11
	v_cmp_gt_u32_e64 s3, s4, v2
	v_cmp_gt_u32_e64 s4, s5, v1
	s_delay_alu instid0(VALU_DEP_3) | instskip(SKIP_1) | instid1(VALU_DEP_1)
	v_sub_nc_u32_e32 v0, v0, v3
	s_waitcnt lgkmcnt(0)
	v_mul_hi_u32 v3, v0, s12
	s_delay_alu instid0(VALU_DEP_1) | instskip(NEXT) | instid1(VALU_DEP_1)
	v_add_nc_u32_e32 v3, v0, v3
	v_lshrrev_b32_e32 v3, s13, v3
	s_delay_alu instid0(VALU_DEP_1) | instskip(SKIP_1) | instid1(VALU_DEP_2)
	v_mul_lo_u32 v4, v3, s14
	v_cmp_gt_u32_e64 s2, s2, v3
	v_sub_nc_u32_e32 v0, v0, v4
	s_delay_alu instid0(VALU_DEP_1) | instskip(NEXT) | instid1(VALU_DEP_3)
	v_cmp_gt_u32_e32 vcc_lo, s14, v0
	s_and_b32 s2, vcc_lo, s2
	s_delay_alu instid0(SALU_CYCLE_1) | instskip(NEXT) | instid1(SALU_CYCLE_1)
	s_and_b32 s2, s2, s3
	s_and_b32 s2, s4, s2
	s_delay_alu instid0(SALU_CYCLE_1)
	s_and_saveexec_b32 s3, s2
	s_cbranch_execz .LBB78_5
; %bb.1:
	s_clause 0x4
	s_load_b64 s[2:3], s[0:1], 0x0
	s_load_b128 s[20:23], s[0:1], 0xa8
	s_load_b256 s[4:11], s[0:1], 0x88
	s_load_b128 s[24:27], s[0:1], 0x78
	s_load_b256 s[12:19], s[0:1], 0x58
	s_waitcnt lgkmcnt(0)
	s_cmp_eq_u64 s[2:3], 0
	s_cbranch_scc1 .LBB78_3
; %bb.2:
	v_mul_lo_u32 v4, v1, s10
	v_mul_lo_u32 v6, v2, s9
	;; [unrolled: 1-line block ×3, first 2 shown]
	v_mov_b32_e32 v5, 0
	s_delay_alu instid0(VALU_DEP_2) | instskip(NEXT) | instid1(VALU_DEP_1)
	v_add3_u32 v4, v6, v4, v7
	v_lshlrev_b64 v[6:7], 1, v[4:5]
	v_mul_lo_u32 v4, v0, s7
	s_delay_alu instid0(VALU_DEP_2) | instskip(NEXT) | instid1(VALU_DEP_3)
	v_add_co_u32 v6, vcc_lo, s2, v6
	v_add_co_ci_u32_e32 v7, vcc_lo, s3, v7, vcc_lo
	s_delay_alu instid0(VALU_DEP_3) | instskip(NEXT) | instid1(VALU_DEP_1)
	v_lshlrev_b64 v[4:5], 1, v[4:5]
	v_add_co_u32 v4, vcc_lo, v6, v4
	s_delay_alu instid0(VALU_DEP_2)
	v_add_co_ci_u32_e32 v5, vcc_lo, v7, v5, vcc_lo
	global_load_u16 v4, v[4:5], off
	s_waitcnt vmcnt(0)
	v_cvt_f32_f16_e32 v4, v4
	s_branch .LBB78_4
.LBB78_3:
	v_mov_b32_e32 v4, 0
.LBB78_4:
	v_mul_hi_u32 v5, s25, v1
	v_mul_hi_u32 v6, s18, v2
	;; [unrolled: 1-line block ×4, first 2 shown]
	s_delay_alu instid0(VALU_DEP_4) | instskip(NEXT) | instid1(VALU_DEP_4)
	v_add_nc_u32_e32 v5, v1, v5
	v_add_nc_u32_e32 v6, v2, v6
	s_delay_alu instid0(VALU_DEP_4) | instskip(NEXT) | instid1(VALU_DEP_4)
	v_add_nc_u32_e32 v7, v3, v7
	v_add_nc_u32_e32 v8, v0, v8
	s_delay_alu instid0(VALU_DEP_4) | instskip(NEXT) | instid1(VALU_DEP_4)
	v_lshrrev_b32_e32 v5, s26, v5
	v_lshrrev_b32_e32 v6, s19, v6
	s_delay_alu instid0(VALU_DEP_4) | instskip(NEXT) | instid1(VALU_DEP_4)
	v_lshrrev_b32_e32 v7, s16, v7
	v_lshrrev_b32_e32 v8, s13, v8
	s_delay_alu instid0(VALU_DEP_4) | instskip(NEXT) | instid1(VALU_DEP_4)
	v_mul_lo_u32 v5, v5, s27
	v_mul_lo_u32 v6, v6, s24
	s_delay_alu instid0(VALU_DEP_4) | instskip(NEXT) | instid1(VALU_DEP_4)
	v_mul_lo_u32 v7, v7, s17
	v_mul_lo_u32 v8, v8, s14
	s_load_b128 s[16:19], s[0:1], 0xd8
	s_delay_alu instid0(VALU_DEP_4) | instskip(NEXT) | instid1(VALU_DEP_4)
	v_sub_nc_u32_e32 v5, v1, v5
	v_sub_nc_u32_e32 v6, v2, v6
	s_delay_alu instid0(VALU_DEP_4) | instskip(NEXT) | instid1(VALU_DEP_4)
	v_sub_nc_u32_e32 v7, v3, v7
	v_sub_nc_u32_e32 v8, v0, v8
	v_mul_lo_u32 v1, v1, s6
	v_mul_lo_u32 v5, v5, s22
	;; [unrolled: 1-line block ×5, first 2 shown]
	s_clause 0x1
	s_load_b256 s[8:15], s[0:1], 0xb8
	s_load_b64 s[0:1], s[0:1], 0x10
	v_mul_lo_u32 v2, v2, s5
	s_delay_alu instid0(VALU_DEP_3) | instskip(NEXT) | instid1(VALU_DEP_3)
	v_add3_u32 v5, v6, v5, v7
	v_ashrrev_i32_e32 v6, 31, v8
	s_delay_alu instid0(VALU_DEP_2) | instskip(SKIP_1) | instid1(VALU_DEP_2)
	v_ashrrev_i32_e32 v7, 31, v5
	v_add_co_u32 v5, vcc_lo, v8, v5
	v_add_co_ci_u32_e32 v6, vcc_lo, v6, v7, vcc_lo
	s_delay_alu instid0(VALU_DEP_1) | instskip(SKIP_1) | instid1(VALU_DEP_1)
	v_lshlrev_b64 v[5:6], 2, v[5:6]
	s_waitcnt lgkmcnt(0)
	v_add_co_u32 v7, vcc_lo, s8, v5
	s_delay_alu instid0(VALU_DEP_2)
	v_add_co_ci_u32_e32 v8, vcc_lo, s9, v6, vcc_lo
	v_add_co_u32 v9, vcc_lo, s10, v5
	v_add_co_ci_u32_e32 v10, vcc_lo, s11, v6, vcc_lo
	global_load_b32 v11, v[7:8], off
	v_add_co_u32 v7, vcc_lo, s12, v5
	v_add_co_ci_u32_e32 v8, vcc_lo, s13, v6, vcc_lo
	global_load_b32 v12, v[9:10], off
	;; [unrolled: 3-line block ×5, first 2 shown]
	global_load_b32 v5, v[5:6], off
	v_mul_lo_u32 v6, v3, s4
	v_mov_b32_e32 v3, 0
	s_delay_alu instid0(VALU_DEP_2) | instskip(NEXT) | instid1(VALU_DEP_2)
	v_add3_u32 v2, v2, v1, v6
	v_mov_b32_e32 v1, v3
	s_delay_alu instid0(VALU_DEP_2) | instskip(NEXT) | instid1(VALU_DEP_2)
	v_lshlrev_b64 v[2:3], 2, v[2:3]
	v_lshlrev_b64 v[0:1], 2, v[0:1]
	s_delay_alu instid0(VALU_DEP_2) | instskip(NEXT) | instid1(VALU_DEP_3)
	v_add_co_u32 v2, vcc_lo, s0, v2
	v_add_co_ci_u32_e32 v3, vcc_lo, s1, v3, vcc_lo
	s_delay_alu instid0(VALU_DEP_2) | instskip(NEXT) | instid1(VALU_DEP_2)
	v_add_co_u32 v0, vcc_lo, v2, v0
	v_add_co_ci_u32_e32 v1, vcc_lo, v3, v1, vcc_lo
	s_waitcnt vmcnt(5)
	v_add_f32_e32 v4, v4, v11
	s_waitcnt vmcnt(4)
	s_delay_alu instid0(VALU_DEP_1) | instskip(SKIP_1) | instid1(VALU_DEP_1)
	v_add_f32_e32 v4, v4, v12
	s_waitcnt vmcnt(3)
	v_add_f32_e32 v4, v4, v13
	s_waitcnt vmcnt(2)
	s_delay_alu instid0(VALU_DEP_1) | instskip(SKIP_1) | instid1(VALU_DEP_1)
	v_add_f32_e32 v4, v4, v9
	s_waitcnt vmcnt(1)
	v_add_f32_e32 v4, v4, v7
	s_waitcnt vmcnt(0)
	s_delay_alu instid0(VALU_DEP_1)
	v_add_f32_e32 v4, v4, v5
	global_store_b32 v[0:1], v4, off
.LBB78_5:
	s_nop 0
	s_sendmsg sendmsg(MSG_DEALLOC_VGPRS)
	s_endpgm
	.section	.rodata,"a",@progbits
	.p2align	6, 0x0
	.amdhsa_kernel _ZL19k_bin_bcast_unravelIXadL_ZL6op_addffEE6__halfffJPKfS2_S2_S2_S2_S2_EEvPKT0_PKT1_PT2_15HIP_vector_typeIjLj3EESC_SC_jSC_SC_SC_SC_SC_SC_iiiiiiiiiiiDpT3_
		.amdhsa_group_segment_fixed_size 0
		.amdhsa_private_segment_fixed_size 0
		.amdhsa_kernarg_size 488
		.amdhsa_user_sgpr_count 15
		.amdhsa_user_sgpr_dispatch_ptr 0
		.amdhsa_user_sgpr_queue_ptr 0
		.amdhsa_user_sgpr_kernarg_segment_ptr 1
		.amdhsa_user_sgpr_dispatch_id 0
		.amdhsa_user_sgpr_private_segment_size 0
		.amdhsa_wavefront_size32 1
		.amdhsa_uses_dynamic_stack 0
		.amdhsa_enable_private_segment 0
		.amdhsa_system_sgpr_workgroup_id_x 1
		.amdhsa_system_sgpr_workgroup_id_y 0
		.amdhsa_system_sgpr_workgroup_id_z 0
		.amdhsa_system_sgpr_workgroup_info 0
		.amdhsa_system_vgpr_workitem_id 0
		.amdhsa_next_free_vgpr 14
		.amdhsa_next_free_sgpr 28
		.amdhsa_reserve_vcc 1
		.amdhsa_float_round_mode_32 0
		.amdhsa_float_round_mode_16_64 0
		.amdhsa_float_denorm_mode_32 3
		.amdhsa_float_denorm_mode_16_64 3
		.amdhsa_dx10_clamp 1
		.amdhsa_ieee_mode 1
		.amdhsa_fp16_overflow 0
		.amdhsa_workgroup_processor_mode 1
		.amdhsa_memory_ordered 1
		.amdhsa_forward_progress 0
		.amdhsa_shared_vgpr_count 0
		.amdhsa_exception_fp_ieee_invalid_op 0
		.amdhsa_exception_fp_denorm_src 0
		.amdhsa_exception_fp_ieee_div_zero 0
		.amdhsa_exception_fp_ieee_overflow 0
		.amdhsa_exception_fp_ieee_underflow 0
		.amdhsa_exception_fp_ieee_inexact 0
		.amdhsa_exception_int_div_zero 0
	.end_amdhsa_kernel
	.section	.text._ZL19k_bin_bcast_unravelIXadL_ZL6op_addffEE6__halfffJPKfS2_S2_S2_S2_S2_EEvPKT0_PKT1_PT2_15HIP_vector_typeIjLj3EESC_SC_jSC_SC_SC_SC_SC_SC_iiiiiiiiiiiDpT3_,"axG",@progbits,_ZL19k_bin_bcast_unravelIXadL_ZL6op_addffEE6__halfffJPKfS2_S2_S2_S2_S2_EEvPKT0_PKT1_PT2_15HIP_vector_typeIjLj3EESC_SC_jSC_SC_SC_SC_SC_SC_iiiiiiiiiiiDpT3_,comdat
.Lfunc_end78:
	.size	_ZL19k_bin_bcast_unravelIXadL_ZL6op_addffEE6__halfffJPKfS2_S2_S2_S2_S2_EEvPKT0_PKT1_PT2_15HIP_vector_typeIjLj3EESC_SC_jSC_SC_SC_SC_SC_SC_iiiiiiiiiiiDpT3_, .Lfunc_end78-_ZL19k_bin_bcast_unravelIXadL_ZL6op_addffEE6__halfffJPKfS2_S2_S2_S2_S2_EEvPKT0_PKT1_PT2_15HIP_vector_typeIjLj3EESC_SC_jSC_SC_SC_SC_SC_SC_iiiiiiiiiiiDpT3_
                                        ; -- End function
	.section	.AMDGPU.csdata,"",@progbits
; Kernel info:
; codeLenInByte = 976
; NumSgprs: 30
; NumVgprs: 14
; ScratchSize: 0
; MemoryBound: 0
; FloatMode: 240
; IeeeMode: 1
; LDSByteSize: 0 bytes/workgroup (compile time only)
; SGPRBlocks: 3
; VGPRBlocks: 1
; NumSGPRsForWavesPerEU: 30
; NumVGPRsForWavesPerEU: 14
; Occupancy: 16
; WaveLimiterHint : 1
; COMPUTE_PGM_RSRC2:SCRATCH_EN: 0
; COMPUTE_PGM_RSRC2:USER_SGPR: 15
; COMPUTE_PGM_RSRC2:TRAP_HANDLER: 0
; COMPUTE_PGM_RSRC2:TGID_X_EN: 1
; COMPUTE_PGM_RSRC2:TGID_Y_EN: 0
; COMPUTE_PGM_RSRC2:TGID_Z_EN: 0
; COMPUTE_PGM_RSRC2:TIDIG_COMP_CNT: 0
	.section	.text._ZL11k_bin_bcastIXadL_ZL6op_addffEE6__halfffJPKfS2_S2_S2_S2_S2_EEvPKT0_PKT1_PT2_iii15HIP_vector_typeIjLj3EESC_SC_SC_SC_iiiiiiiiiiiDpT3_,"axG",@progbits,_ZL11k_bin_bcastIXadL_ZL6op_addffEE6__halfffJPKfS2_S2_S2_S2_S2_EEvPKT0_PKT1_PT2_iii15HIP_vector_typeIjLj3EESC_SC_SC_SC_iiiiiiiiiiiDpT3_,comdat
	.globl	_ZL11k_bin_bcastIXadL_ZL6op_addffEE6__halfffJPKfS2_S2_S2_S2_S2_EEvPKT0_PKT1_PT2_iii15HIP_vector_typeIjLj3EESC_SC_SC_SC_iiiiiiiiiiiDpT3_ ; -- Begin function _ZL11k_bin_bcastIXadL_ZL6op_addffEE6__halfffJPKfS2_S2_S2_S2_S2_EEvPKT0_PKT1_PT2_iii15HIP_vector_typeIjLj3EESC_SC_SC_SC_iiiiiiiiiiiDpT3_
	.p2align	8
	.type	_ZL11k_bin_bcastIXadL_ZL6op_addffEE6__halfffJPKfS2_S2_S2_S2_S2_EEvPKT0_PKT1_PT2_iii15HIP_vector_typeIjLj3EESC_SC_SC_SC_iiiiiiiiiiiDpT3_,@function
_ZL11k_bin_bcastIXadL_ZL6op_addffEE6__halfffJPKfS2_S2_S2_S2_S2_EEvPKT0_PKT1_PT2_iii15HIP_vector_typeIjLj3EESC_SC_SC_SC_iiiiiiiiiiiDpT3_: ; @_ZL11k_bin_bcastIXadL_ZL6op_addffEE6__halfffJPKfS2_S2_S2_S2_S2_EEvPKT0_PKT1_PT2_iii15HIP_vector_typeIjLj3EESC_SC_SC_SC_iiiiiiiiiiiDpT3_
; %bb.0:
	s_clause 0x1
	s_load_b64 s[2:3], s[0:1], 0xcc
	s_load_b256 s[16:23], s[0:1], 0x18
	v_bfe_u32 v1, v0, 20, 10
	s_add_u32 s34, s0, 0xc0
	s_addc_u32 s35, s1, 0
	s_waitcnt lgkmcnt(0)
	s_and_b32 s3, s3, 0xffff
	s_delay_alu instid0(SALU_CYCLE_1) | instskip(SKIP_3) | instid1(VALU_DEP_3)
	v_mad_u64_u32 v[4:5], null, s15, s3, v[1:2]
	v_and_b32_e32 v2, 0x3ff, v0
	v_bfe_u32 v5, v0, 10, 10
	s_lshr_b32 s3, s2, 16
	v_mul_hi_u32 v1, v4, s19
	s_delay_alu instid0(VALU_DEP_1) | instskip(NEXT) | instid1(VALU_DEP_1)
	v_add_nc_u32_e32 v1, v4, v1
	v_lshrrev_b32_e32 v3, s20, v1
	s_and_b32 s20, s2, 0xffff
	s_delay_alu instid0(VALU_DEP_1) | instskip(SKIP_1) | instid1(VALU_DEP_2)
	v_mul_lo_u32 v6, v3, s21
	v_mad_u64_u32 v[0:1], null, s13, s20, v[2:3]
	v_mad_u64_u32 v[1:2], null, s14, s3, v[5:6]
	v_sub_nc_u32_e32 v4, v4, v6
	s_delay_alu instid0(VALU_DEP_3) | instskip(SKIP_1) | instid1(VALU_DEP_3)
	v_cmp_gt_u32_e32 vcc_lo, s16, v0
	v_cmp_gt_u32_e64 s3, s18, v3
	v_cmp_gt_u32_e64 s4, s21, v4
	;; [unrolled: 1-line block ×3, first 2 shown]
	s_delay_alu instid0(VALU_DEP_1)
	s_and_b32 s2, vcc_lo, s2
	s_delay_alu instid0(VALU_DEP_3) | instid1(SALU_CYCLE_1)
	s_and_b32 s2, s2, s3
	s_delay_alu instid0(VALU_DEP_2) | instid1(SALU_CYCLE_1)
	s_and_b32 s2, s2, s4
	s_delay_alu instid0(SALU_CYCLE_1)
	s_and_saveexec_b32 s3, s2
	s_cbranch_execz .LBB79_6
; %bb.1:
	v_cmp_gt_i32_e32 vcc_lo, s16, v0
	s_and_b32 exec_lo, exec_lo, vcc_lo
	s_cbranch_execz .LBB79_6
; %bb.2:
	s_clause 0x2
	s_load_b256 s[24:31], s[0:1], 0x3c
	s_load_b256 s[4:11], s[0:1], 0x60
	s_load_b128 s[36:39], s[0:1], 0x80
	s_load_b32 s17, s[34:35], 0x0
	s_clause 0x4
	s_load_b32 s21, s[0:1], 0x5c
	s_load_b64 s[18:19], s[0:1], 0x0
	s_load_b32 s33, s[0:1], 0x38
	s_load_b64 s[2:3], s[0:1], 0x10
	s_load_b128 s[12:15], s[0:1], 0xb0
	s_waitcnt lgkmcnt(0)
	v_mul_hi_u32 v2, s24, v1
	v_mul_hi_u32 v5, s27, v3
	;; [unrolled: 1-line block ×3, first 2 shown]
	v_mul_lo_u32 v9, v4, s10
	v_mul_lo_u32 v10, v3, s9
	;; [unrolled: 1-line block ×3, first 2 shown]
	v_mov_b32_e32 v6, 0
	v_mul_lo_u32 v12, v4, s6
	v_add_nc_u32_e32 v2, v1, v2
	v_add_nc_u32_e32 v5, v3, v5
	s_delay_alu instid0(VALU_DEP_4) | instskip(SKIP_1) | instid1(VALU_DEP_4)
	v_dual_mov_b32 v8, v6 :: v_dual_add_nc_u32 v7, v4, v7
	v_mul_lo_u32 v13, v3, s5
	v_lshrrev_b32_e32 v2, s25, v2
	s_delay_alu instid0(VALU_DEP_4) | instskip(NEXT) | instid1(VALU_DEP_4)
	v_lshrrev_b32_e32 v15, s28, v5
	v_lshrrev_b32_e32 v16, s31, v7
	v_add3_u32 v5, v10, v11, v9
	v_mul_lo_u32 v14, v1, s4
	v_mul_lo_u32 v9, v2, s26
	;; [unrolled: 1-line block ×4, first 2 shown]
	v_lshlrev_b64 v[5:6], 1, v[5:6]
	s_load_b256 s[24:31], s[0:1], 0x90
	s_cmp_lg_u64 s[18:19], 0
	v_mul_lo_u32 v2, s7, v0
	v_add3_u32 v7, v13, v14, v12
	v_sub_nc_u32_e32 v1, v1, v9
	v_sub_nc_u32_e32 v3, v3, v10
	;; [unrolled: 1-line block ×3, first 2 shown]
	v_add_co_u32 v9, vcc_lo, s18, v5
	v_add_co_ci_u32_e32 v5, vcc_lo, s19, v6, vcc_lo
	v_lshlrev_b64 v[7:8], 2, v[7:8]
	s_delay_alu instid0(VALU_DEP_4)
	v_mul_lo_u32 v10, v4, s38
	v_mul_lo_u32 v3, v3, s37
	;; [unrolled: 1-line block ×3, first 2 shown]
	s_cselect_b32 vcc_lo, -1, 0
	s_sub_i32 s5, 0, s33
	v_cndmask_b32_e32 v5, 0, v5, vcc_lo
	v_cndmask_b32_e32 v4, 0, v9, vcc_lo
	v_add_co_u32 v6, vcc_lo, s2, v7
	v_add_co_ci_u32_e32 v7, vcc_lo, s3, v8, vcc_lo
	s_delay_alu instid0(VALU_DEP_3)
	v_cmp_ne_u64_e32 vcc_lo, 0, v[4:5]
	v_add3_u32 v8, v3, v10, v1
	s_mul_i32 s2, s17, s20
	s_mov_b32 s3, 0
	s_mul_i32 s4, s2, s7
	s_branch .LBB79_4
.LBB79_3:                               ;   in Loop: Header=BB79_4 Depth=1
	s_or_b32 exec_lo, exec_lo, s1
	v_mul_hi_u32 v3, s22, v0
	v_add_nc_u32_e32 v2, s4, v2
	s_delay_alu instid0(VALU_DEP_2) | instskip(NEXT) | instid1(VALU_DEP_1)
	v_add_nc_u32_e32 v3, v0, v3
	v_lshrrev_b32_e32 v3, s23, v3
	s_delay_alu instid0(VALU_DEP_1) | instskip(NEXT) | instid1(VALU_DEP_1)
	v_mad_u64_u32 v[9:10], null, s5, v3, v[0:1]
	v_mul_lo_u32 v3, v9, s11
	s_delay_alu instid0(VALU_DEP_1) | instskip(NEXT) | instid1(VALU_DEP_1)
	v_add_co_u32 v9, s0, v3, v8
	v_add_co_ci_u32_e64 v10, null, 0, 0, s0
	s_delay_alu instid0(VALU_DEP_1) | instskip(SKIP_1) | instid1(VALU_DEP_1)
	v_lshlrev_b64 v[9:10], 2, v[9:10]
	s_waitcnt lgkmcnt(0)
	v_add_co_u32 v11, s0, s24, v9
	s_delay_alu instid0(VALU_DEP_1) | instskip(SKIP_1) | instid1(VALU_DEP_1)
	v_add_co_ci_u32_e64 v12, s0, s25, v10, s0
	v_add_co_u32 v13, s0, s26, v9
	v_add_co_ci_u32_e64 v14, s0, s27, v10, s0
	global_load_b32 v3, v[11:12], off
	v_add_co_u32 v11, s0, s28, v9
	s_delay_alu instid0(VALU_DEP_1) | instskip(SKIP_2) | instid1(VALU_DEP_1)
	v_add_co_ci_u32_e64 v12, s0, s29, v10, s0
	global_load_b32 v15, v[13:14], off
	v_add_co_u32 v13, s0, s30, v9
	v_add_co_ci_u32_e64 v14, s0, s31, v10, s0
	global_load_b32 v16, v[11:12], off
	v_add_co_u32 v11, s0, s12, v9
	s_delay_alu instid0(VALU_DEP_1) | instskip(SKIP_2) | instid1(VALU_DEP_1)
	v_add_co_ci_u32_e64 v12, s0, s13, v10, s0
	global_load_b32 v13, v[13:14], off
	v_add_co_u32 v9, s0, s14, v9
	v_add_co_ci_u32_e64 v10, s0, s15, v10, s0
	global_load_b32 v11, v[11:12], off
	global_load_b32 v12, v[9:10], off
	s_waitcnt vmcnt(5)
	v_add_f32_e32 v1, v1, v3
	s_waitcnt vmcnt(4)
	s_delay_alu instid0(VALU_DEP_1) | instskip(SKIP_1) | instid1(VALU_DEP_1)
	v_add_f32_e32 v1, v1, v15
	s_waitcnt vmcnt(3)
	v_add_f32_e32 v3, v1, v16
	v_ashrrev_i32_e32 v1, 31, v0
	s_waitcnt vmcnt(2)
	s_delay_alu instid0(VALU_DEP_2) | instskip(NEXT) | instid1(VALU_DEP_2)
	v_add_f32_e32 v3, v3, v13
	v_lshlrev_b64 v[9:10], 2, v[0:1]
	s_waitcnt vmcnt(1)
	s_delay_alu instid0(VALU_DEP_2) | instskip(NEXT) | instid1(VALU_DEP_1)
	v_dual_add_f32 v1, v3, v11 :: v_dual_add_nc_u32 v0, s2, v0
	v_cmp_le_i32_e64 s0, s16, v0
	s_delay_alu instid0(VALU_DEP_3) | instskip(NEXT) | instid1(VALU_DEP_1)
	v_add_co_u32 v9, s1, v6, v9
	v_add_co_ci_u32_e64 v10, s1, v7, v10, s1
	s_waitcnt vmcnt(0)
	v_add_f32_e32 v1, v1, v12
	s_or_b32 s3, s0, s3
	global_store_b32 v[9:10], v1, off
	s_and_not1_b32 exec_lo, exec_lo, s3
	s_cbranch_execz .LBB79_6
.LBB79_4:                               ; =>This Inner Loop Header: Depth=1
	v_mov_b32_e32 v1, 0
	s_and_saveexec_b32 s1, vcc_lo
	s_cbranch_execz .LBB79_3
; %bb.5:                                ;   in Loop: Header=BB79_4 Depth=1
	v_ashrrev_i32_e32 v3, 31, v2
	s_delay_alu instid0(VALU_DEP_1) | instskip(NEXT) | instid1(VALU_DEP_1)
	v_lshlrev_b64 v[9:10], 1, v[2:3]
	v_add_co_u32 v9, s0, v4, v9
	s_delay_alu instid0(VALU_DEP_1)
	v_add_co_ci_u32_e64 v10, s0, v5, v10, s0
	global_load_u16 v1, v[9:10], off
	s_waitcnt vmcnt(0)
	v_cvt_f32_f16_e32 v1, v1
	s_branch .LBB79_3
.LBB79_6:
	s_nop 0
	s_sendmsg sendmsg(MSG_DEALLOC_VGPRS)
	s_endpgm
	.section	.rodata,"a",@progbits
	.p2align	6, 0x0
	.amdhsa_kernel _ZL11k_bin_bcastIXadL_ZL6op_addffEE6__halfffJPKfS2_S2_S2_S2_S2_EEvPKT0_PKT1_PT2_iii15HIP_vector_typeIjLj3EESC_SC_SC_SC_iiiiiiiiiiiDpT3_
		.amdhsa_group_segment_fixed_size 0
		.amdhsa_private_segment_fixed_size 0
		.amdhsa_kernarg_size 448
		.amdhsa_user_sgpr_count 13
		.amdhsa_user_sgpr_dispatch_ptr 0
		.amdhsa_user_sgpr_queue_ptr 0
		.amdhsa_user_sgpr_kernarg_segment_ptr 1
		.amdhsa_user_sgpr_dispatch_id 0
		.amdhsa_user_sgpr_private_segment_size 0
		.amdhsa_wavefront_size32 1
		.amdhsa_uses_dynamic_stack 0
		.amdhsa_enable_private_segment 0
		.amdhsa_system_sgpr_workgroup_id_x 1
		.amdhsa_system_sgpr_workgroup_id_y 1
		.amdhsa_system_sgpr_workgroup_id_z 1
		.amdhsa_system_sgpr_workgroup_info 0
		.amdhsa_system_vgpr_workitem_id 2
		.amdhsa_next_free_vgpr 17
		.amdhsa_next_free_sgpr 40
		.amdhsa_reserve_vcc 1
		.amdhsa_float_round_mode_32 0
		.amdhsa_float_round_mode_16_64 0
		.amdhsa_float_denorm_mode_32 3
		.amdhsa_float_denorm_mode_16_64 3
		.amdhsa_dx10_clamp 1
		.amdhsa_ieee_mode 1
		.amdhsa_fp16_overflow 0
		.amdhsa_workgroup_processor_mode 1
		.amdhsa_memory_ordered 1
		.amdhsa_forward_progress 0
		.amdhsa_shared_vgpr_count 0
		.amdhsa_exception_fp_ieee_invalid_op 0
		.amdhsa_exception_fp_denorm_src 0
		.amdhsa_exception_fp_ieee_div_zero 0
		.amdhsa_exception_fp_ieee_overflow 0
		.amdhsa_exception_fp_ieee_underflow 0
		.amdhsa_exception_fp_ieee_inexact 0
		.amdhsa_exception_int_div_zero 0
	.end_amdhsa_kernel
	.section	.text._ZL11k_bin_bcastIXadL_ZL6op_addffEE6__halfffJPKfS2_S2_S2_S2_S2_EEvPKT0_PKT1_PT2_iii15HIP_vector_typeIjLj3EESC_SC_SC_SC_iiiiiiiiiiiDpT3_,"axG",@progbits,_ZL11k_bin_bcastIXadL_ZL6op_addffEE6__halfffJPKfS2_S2_S2_S2_S2_EEvPKT0_PKT1_PT2_iii15HIP_vector_typeIjLj3EESC_SC_SC_SC_iiiiiiiiiiiDpT3_,comdat
.Lfunc_end79:
	.size	_ZL11k_bin_bcastIXadL_ZL6op_addffEE6__halfffJPKfS2_S2_S2_S2_S2_EEvPKT0_PKT1_PT2_iii15HIP_vector_typeIjLj3EESC_SC_SC_SC_iiiiiiiiiiiDpT3_, .Lfunc_end79-_ZL11k_bin_bcastIXadL_ZL6op_addffEE6__halfffJPKfS2_S2_S2_S2_S2_EEvPKT0_PKT1_PT2_iii15HIP_vector_typeIjLj3EESC_SC_SC_SC_iiiiiiiiiiiDpT3_
                                        ; -- End function
	.section	.AMDGPU.csdata,"",@progbits
; Kernel info:
; codeLenInByte = 1052
; NumSgprs: 42
; NumVgprs: 17
; ScratchSize: 0
; MemoryBound: 0
; FloatMode: 240
; IeeeMode: 1
; LDSByteSize: 0 bytes/workgroup (compile time only)
; SGPRBlocks: 5
; VGPRBlocks: 2
; NumSGPRsForWavesPerEU: 42
; NumVGPRsForWavesPerEU: 17
; Occupancy: 16
; WaveLimiterHint : 1
; COMPUTE_PGM_RSRC2:SCRATCH_EN: 0
; COMPUTE_PGM_RSRC2:USER_SGPR: 13
; COMPUTE_PGM_RSRC2:TRAP_HANDLER: 0
; COMPUTE_PGM_RSRC2:TGID_X_EN: 1
; COMPUTE_PGM_RSRC2:TGID_Y_EN: 1
; COMPUTE_PGM_RSRC2:TGID_Z_EN: 1
; COMPUTE_PGM_RSRC2:TIDIG_COMP_CNT: 2
	.section	.text._ZL19k_bin_bcast_unravelIXadL_ZL6op_addffEEfffJPKfS1_S1_S1_S1_S1_S1_EEvPKT0_PKT1_PT2_15HIP_vector_typeIjLj3EESB_SB_jSB_SB_SB_SB_SB_SB_iiiiiiiiiiiDpT3_,"axG",@progbits,_ZL19k_bin_bcast_unravelIXadL_ZL6op_addffEEfffJPKfS1_S1_S1_S1_S1_S1_EEvPKT0_PKT1_PT2_15HIP_vector_typeIjLj3EESB_SB_jSB_SB_SB_SB_SB_SB_iiiiiiiiiiiDpT3_,comdat
	.globl	_ZL19k_bin_bcast_unravelIXadL_ZL6op_addffEEfffJPKfS1_S1_S1_S1_S1_S1_EEvPKT0_PKT1_PT2_15HIP_vector_typeIjLj3EESB_SB_jSB_SB_SB_SB_SB_SB_iiiiiiiiiiiDpT3_ ; -- Begin function _ZL19k_bin_bcast_unravelIXadL_ZL6op_addffEEfffJPKfS1_S1_S1_S1_S1_S1_EEvPKT0_PKT1_PT2_15HIP_vector_typeIjLj3EESB_SB_jSB_SB_SB_SB_SB_SB_iiiiiiiiiiiDpT3_
	.p2align	8
	.type	_ZL19k_bin_bcast_unravelIXadL_ZL6op_addffEEfffJPKfS1_S1_S1_S1_S1_S1_EEvPKT0_PKT1_PT2_15HIP_vector_typeIjLj3EESB_SB_jSB_SB_SB_SB_SB_SB_iiiiiiiiiiiDpT3_,@function
_ZL19k_bin_bcast_unravelIXadL_ZL6op_addffEEfffJPKfS1_S1_S1_S1_S1_S1_EEvPKT0_PKT1_PT2_15HIP_vector_typeIjLj3EESB_SB_jSB_SB_SB_SB_SB_SB_iiiiiiiiiiiDpT3_: ; @_ZL19k_bin_bcast_unravelIXadL_ZL6op_addffEEfffJPKfS1_S1_S1_S1_S1_S1_EEvPKT0_PKT1_PT2_15HIP_vector_typeIjLj3EESB_SB_jSB_SB_SB_SB_SB_SB_iiiiiiiiiiiDpT3_
; %bb.0:
	s_clause 0x1
	s_load_b32 s2, s[0:1], 0xfc
	s_load_b256 s[4:11], s[0:1], 0x38
	s_waitcnt lgkmcnt(0)
	s_and_b32 s2, s2, 0xffff
	s_delay_alu instid0(SALU_CYCLE_1) | instskip(SKIP_3) | instid1(VALU_DEP_1)
	v_mad_u64_u32 v[2:3], null, s15, s2, v[0:1]
	s_clause 0x1
	s_load_b128 s[12:15], s[0:1], 0x18
	s_load_b32 s2, s[0:1], 0x2c
	v_mul_hi_u32 v0, v2, s6
	s_delay_alu instid0(VALU_DEP_1) | instskip(NEXT) | instid1(VALU_DEP_1)
	v_add_nc_u32_e32 v0, v2, v0
	v_lshrrev_b32_e32 v1, s7, v0
	s_delay_alu instid0(VALU_DEP_1) | instskip(NEXT) | instid1(VALU_DEP_1)
	v_mul_lo_u32 v0, v1, s8
	v_sub_nc_u32_e32 v0, v2, v0
	s_delay_alu instid0(VALU_DEP_1) | instskip(NEXT) | instid1(VALU_DEP_1)
	v_mul_hi_u32 v2, v0, s9
	v_add_nc_u32_e32 v2, v0, v2
	s_delay_alu instid0(VALU_DEP_1) | instskip(NEXT) | instid1(VALU_DEP_1)
	v_lshrrev_b32_e32 v2, s10, v2
	v_mul_lo_u32 v3, v2, s11
	v_cmp_gt_u32_e64 s3, s4, v2
	v_cmp_gt_u32_e64 s4, s5, v1
	s_delay_alu instid0(VALU_DEP_3) | instskip(SKIP_1) | instid1(VALU_DEP_1)
	v_sub_nc_u32_e32 v0, v0, v3
	s_waitcnt lgkmcnt(0)
	v_mul_hi_u32 v3, v0, s12
	s_delay_alu instid0(VALU_DEP_1) | instskip(NEXT) | instid1(VALU_DEP_1)
	v_add_nc_u32_e32 v3, v0, v3
	v_lshrrev_b32_e32 v3, s13, v3
	s_delay_alu instid0(VALU_DEP_1) | instskip(SKIP_1) | instid1(VALU_DEP_2)
	v_mul_lo_u32 v4, v3, s14
	v_cmp_gt_u32_e64 s2, s2, v3
	v_sub_nc_u32_e32 v0, v0, v4
	s_delay_alu instid0(VALU_DEP_1) | instskip(NEXT) | instid1(VALU_DEP_3)
	v_cmp_gt_u32_e32 vcc_lo, s14, v0
	s_and_b32 s2, vcc_lo, s2
	s_delay_alu instid0(SALU_CYCLE_1) | instskip(NEXT) | instid1(SALU_CYCLE_1)
	s_and_b32 s2, s2, s3
	s_and_b32 s2, s4, s2
	s_delay_alu instid0(SALU_CYCLE_1)
	s_and_saveexec_b32 s3, s2
	s_cbranch_execz .LBB80_5
; %bb.1:
	s_clause 0x4
	s_load_b64 s[2:3], s[0:1], 0x0
	s_load_b128 s[20:23], s[0:1], 0xa8
	s_load_b256 s[4:11], s[0:1], 0x88
	s_load_b128 s[24:27], s[0:1], 0x78
	s_load_b256 s[12:19], s[0:1], 0x58
	s_waitcnt lgkmcnt(0)
	s_cmp_eq_u64 s[2:3], 0
	s_cbranch_scc1 .LBB80_3
; %bb.2:
	v_mul_lo_u32 v4, v1, s10
	v_mul_lo_u32 v6, v2, s9
	;; [unrolled: 1-line block ×3, first 2 shown]
	v_mov_b32_e32 v5, 0
	s_delay_alu instid0(VALU_DEP_2) | instskip(NEXT) | instid1(VALU_DEP_1)
	v_add3_u32 v4, v6, v4, v7
	v_lshlrev_b64 v[6:7], 2, v[4:5]
	v_mul_lo_u32 v4, v0, s7
	s_delay_alu instid0(VALU_DEP_2) | instskip(NEXT) | instid1(VALU_DEP_3)
	v_add_co_u32 v6, vcc_lo, s2, v6
	v_add_co_ci_u32_e32 v7, vcc_lo, s3, v7, vcc_lo
	s_delay_alu instid0(VALU_DEP_3) | instskip(NEXT) | instid1(VALU_DEP_1)
	v_lshlrev_b64 v[4:5], 2, v[4:5]
	v_add_co_u32 v4, vcc_lo, v6, v4
	s_delay_alu instid0(VALU_DEP_2)
	v_add_co_ci_u32_e32 v5, vcc_lo, v7, v5, vcc_lo
	global_load_b32 v4, v[4:5], off
	s_branch .LBB80_4
.LBB80_3:
	v_mov_b32_e32 v4, 0
.LBB80_4:
	v_mul_hi_u32 v5, s25, v1
	v_mul_hi_u32 v6, s18, v2
	;; [unrolled: 1-line block ×4, first 2 shown]
	s_delay_alu instid0(VALU_DEP_4) | instskip(NEXT) | instid1(VALU_DEP_4)
	v_add_nc_u32_e32 v5, v1, v5
	v_add_nc_u32_e32 v6, v2, v6
	s_delay_alu instid0(VALU_DEP_4) | instskip(NEXT) | instid1(VALU_DEP_4)
	v_add_nc_u32_e32 v7, v3, v7
	v_add_nc_u32_e32 v8, v0, v8
	s_delay_alu instid0(VALU_DEP_4) | instskip(NEXT) | instid1(VALU_DEP_4)
	v_lshrrev_b32_e32 v5, s26, v5
	v_lshrrev_b32_e32 v6, s19, v6
	s_delay_alu instid0(VALU_DEP_4) | instskip(NEXT) | instid1(VALU_DEP_4)
	v_lshrrev_b32_e32 v7, s16, v7
	v_lshrrev_b32_e32 v8, s13, v8
	s_delay_alu instid0(VALU_DEP_4) | instskip(NEXT) | instid1(VALU_DEP_4)
	v_mul_lo_u32 v5, v5, s27
	v_mul_lo_u32 v6, v6, s24
	s_delay_alu instid0(VALU_DEP_4) | instskip(NEXT) | instid1(VALU_DEP_4)
	v_mul_lo_u32 v7, v7, s17
	v_mul_lo_u32 v8, v8, s14
	s_clause 0x1
	s_load_b64 s[2:3], s[0:1], 0xe8
	s_load_b128 s[16:19], s[0:1], 0xd8
	s_delay_alu instid0(VALU_DEP_4) | instskip(NEXT) | instid1(VALU_DEP_4)
	v_sub_nc_u32_e32 v5, v1, v5
	v_sub_nc_u32_e32 v6, v2, v6
	s_delay_alu instid0(VALU_DEP_4) | instskip(NEXT) | instid1(VALU_DEP_4)
	v_sub_nc_u32_e32 v7, v3, v7
	v_sub_nc_u32_e32 v8, v0, v8
	v_mul_lo_u32 v1, v1, s6
	v_mul_lo_u32 v5, v5, s22
	v_mul_lo_u32 v6, v6, s21
	v_mul_lo_u32 v7, v7, s20
	v_mul_lo_u32 v8, v8, s11
	s_clause 0x1
	s_load_b256 s[8:15], s[0:1], 0xb8
	s_load_b64 s[0:1], s[0:1], 0x10
	v_mul_lo_u32 v2, v2, s5
	s_delay_alu instid0(VALU_DEP_3) | instskip(NEXT) | instid1(VALU_DEP_3)
	v_add3_u32 v5, v6, v5, v7
	v_ashrrev_i32_e32 v6, 31, v8
	s_delay_alu instid0(VALU_DEP_2) | instskip(SKIP_1) | instid1(VALU_DEP_2)
	v_ashrrev_i32_e32 v7, 31, v5
	v_add_co_u32 v5, vcc_lo, v8, v5
	v_add_co_ci_u32_e32 v6, vcc_lo, v6, v7, vcc_lo
	s_delay_alu instid0(VALU_DEP_1) | instskip(SKIP_1) | instid1(VALU_DEP_1)
	v_lshlrev_b64 v[5:6], 2, v[5:6]
	s_waitcnt lgkmcnt(0)
	v_add_co_u32 v7, vcc_lo, s8, v5
	s_delay_alu instid0(VALU_DEP_2)
	v_add_co_ci_u32_e32 v8, vcc_lo, s9, v6, vcc_lo
	v_add_co_u32 v9, vcc_lo, s10, v5
	v_add_co_ci_u32_e32 v10, vcc_lo, s11, v6, vcc_lo
	global_load_b32 v11, v[7:8], off
	v_add_co_u32 v7, vcc_lo, s12, v5
	v_add_co_ci_u32_e32 v8, vcc_lo, s13, v6, vcc_lo
	global_load_b32 v12, v[9:10], off
	;; [unrolled: 3-line block ×6, first 2 shown]
	global_load_b32 v5, v[5:6], off
	v_mul_lo_u32 v6, v3, s4
	v_mov_b32_e32 v3, 0
	s_delay_alu instid0(VALU_DEP_2) | instskip(NEXT) | instid1(VALU_DEP_2)
	v_add3_u32 v2, v2, v1, v6
	v_mov_b32_e32 v1, v3
	s_delay_alu instid0(VALU_DEP_2) | instskip(NEXT) | instid1(VALU_DEP_2)
	v_lshlrev_b64 v[2:3], 2, v[2:3]
	v_lshlrev_b64 v[0:1], 2, v[0:1]
	s_delay_alu instid0(VALU_DEP_2) | instskip(NEXT) | instid1(VALU_DEP_3)
	v_add_co_u32 v2, vcc_lo, s0, v2
	v_add_co_ci_u32_e32 v3, vcc_lo, s1, v3, vcc_lo
	s_delay_alu instid0(VALU_DEP_2) | instskip(NEXT) | instid1(VALU_DEP_2)
	v_add_co_u32 v0, vcc_lo, v2, v0
	v_add_co_ci_u32_e32 v1, vcc_lo, v3, v1, vcc_lo
	s_waitcnt vmcnt(6)
	v_add_f32_e32 v4, v4, v11
	s_waitcnt vmcnt(5)
	s_delay_alu instid0(VALU_DEP_1) | instskip(SKIP_1) | instid1(VALU_DEP_1)
	v_add_f32_e32 v4, v4, v12
	s_waitcnt vmcnt(4)
	v_add_f32_e32 v4, v4, v13
	s_waitcnt vmcnt(3)
	s_delay_alu instid0(VALU_DEP_1) | instskip(SKIP_1) | instid1(VALU_DEP_1)
	v_add_f32_e32 v4, v4, v14
	;; [unrolled: 5-line block ×3, first 2 shown]
	s_waitcnt vmcnt(0)
	v_add_f32_e32 v4, v4, v5
	global_store_b32 v[0:1], v4, off
.LBB80_5:
	s_nop 0
	s_sendmsg sendmsg(MSG_DEALLOC_VGPRS)
	s_endpgm
	.section	.rodata,"a",@progbits
	.p2align	6, 0x0
	.amdhsa_kernel _ZL19k_bin_bcast_unravelIXadL_ZL6op_addffEEfffJPKfS1_S1_S1_S1_S1_S1_EEvPKT0_PKT1_PT2_15HIP_vector_typeIjLj3EESB_SB_jSB_SB_SB_SB_SB_SB_iiiiiiiiiiiDpT3_
		.amdhsa_group_segment_fixed_size 0
		.amdhsa_private_segment_fixed_size 0
		.amdhsa_kernarg_size 496
		.amdhsa_user_sgpr_count 15
		.amdhsa_user_sgpr_dispatch_ptr 0
		.amdhsa_user_sgpr_queue_ptr 0
		.amdhsa_user_sgpr_kernarg_segment_ptr 1
		.amdhsa_user_sgpr_dispatch_id 0
		.amdhsa_user_sgpr_private_segment_size 0
		.amdhsa_wavefront_size32 1
		.amdhsa_uses_dynamic_stack 0
		.amdhsa_enable_private_segment 0
		.amdhsa_system_sgpr_workgroup_id_x 1
		.amdhsa_system_sgpr_workgroup_id_y 0
		.amdhsa_system_sgpr_workgroup_id_z 0
		.amdhsa_system_sgpr_workgroup_info 0
		.amdhsa_system_vgpr_workitem_id 0
		.amdhsa_next_free_vgpr 15
		.amdhsa_next_free_sgpr 28
		.amdhsa_reserve_vcc 1
		.amdhsa_float_round_mode_32 0
		.amdhsa_float_round_mode_16_64 0
		.amdhsa_float_denorm_mode_32 3
		.amdhsa_float_denorm_mode_16_64 3
		.amdhsa_dx10_clamp 1
		.amdhsa_ieee_mode 1
		.amdhsa_fp16_overflow 0
		.amdhsa_workgroup_processor_mode 1
		.amdhsa_memory_ordered 1
		.amdhsa_forward_progress 0
		.amdhsa_shared_vgpr_count 0
		.amdhsa_exception_fp_ieee_invalid_op 0
		.amdhsa_exception_fp_denorm_src 0
		.amdhsa_exception_fp_ieee_div_zero 0
		.amdhsa_exception_fp_ieee_overflow 0
		.amdhsa_exception_fp_ieee_underflow 0
		.amdhsa_exception_fp_ieee_inexact 0
		.amdhsa_exception_int_div_zero 0
	.end_amdhsa_kernel
	.section	.text._ZL19k_bin_bcast_unravelIXadL_ZL6op_addffEEfffJPKfS1_S1_S1_S1_S1_S1_EEvPKT0_PKT1_PT2_15HIP_vector_typeIjLj3EESB_SB_jSB_SB_SB_SB_SB_SB_iiiiiiiiiiiDpT3_,"axG",@progbits,_ZL19k_bin_bcast_unravelIXadL_ZL6op_addffEEfffJPKfS1_S1_S1_S1_S1_S1_EEvPKT0_PKT1_PT2_15HIP_vector_typeIjLj3EESB_SB_jSB_SB_SB_SB_SB_SB_iiiiiiiiiiiDpT3_,comdat
.Lfunc_end80:
	.size	_ZL19k_bin_bcast_unravelIXadL_ZL6op_addffEEfffJPKfS1_S1_S1_S1_S1_S1_EEvPKT0_PKT1_PT2_15HIP_vector_typeIjLj3EESB_SB_jSB_SB_SB_SB_SB_SB_iiiiiiiiiiiDpT3_, .Lfunc_end80-_ZL19k_bin_bcast_unravelIXadL_ZL6op_addffEEfffJPKfS1_S1_S1_S1_S1_S1_EEvPKT0_PKT1_PT2_15HIP_vector_typeIjLj3EESB_SB_jSB_SB_SB_SB_SB_SB_iiiiiiiiiiiDpT3_
                                        ; -- End function
	.section	.AMDGPU.csdata,"",@progbits
; Kernel info:
; codeLenInByte = 1008
; NumSgprs: 30
; NumVgprs: 15
; ScratchSize: 0
; MemoryBound: 0
; FloatMode: 240
; IeeeMode: 1
; LDSByteSize: 0 bytes/workgroup (compile time only)
; SGPRBlocks: 3
; VGPRBlocks: 1
; NumSGPRsForWavesPerEU: 30
; NumVGPRsForWavesPerEU: 15
; Occupancy: 16
; WaveLimiterHint : 1
; COMPUTE_PGM_RSRC2:SCRATCH_EN: 0
; COMPUTE_PGM_RSRC2:USER_SGPR: 15
; COMPUTE_PGM_RSRC2:TRAP_HANDLER: 0
; COMPUTE_PGM_RSRC2:TGID_X_EN: 1
; COMPUTE_PGM_RSRC2:TGID_Y_EN: 0
; COMPUTE_PGM_RSRC2:TGID_Z_EN: 0
; COMPUTE_PGM_RSRC2:TIDIG_COMP_CNT: 0
	.section	.text._ZL11k_bin_bcastIXadL_ZL6op_addffEEfffJPKfS1_S1_S1_S1_S1_S1_EEvPKT0_PKT1_PT2_iii15HIP_vector_typeIjLj3EESB_SB_SB_SB_iiiiiiiiiiiDpT3_,"axG",@progbits,_ZL11k_bin_bcastIXadL_ZL6op_addffEEfffJPKfS1_S1_S1_S1_S1_S1_EEvPKT0_PKT1_PT2_iii15HIP_vector_typeIjLj3EESB_SB_SB_SB_iiiiiiiiiiiDpT3_,comdat
	.globl	_ZL11k_bin_bcastIXadL_ZL6op_addffEEfffJPKfS1_S1_S1_S1_S1_S1_EEvPKT0_PKT1_PT2_iii15HIP_vector_typeIjLj3EESB_SB_SB_SB_iiiiiiiiiiiDpT3_ ; -- Begin function _ZL11k_bin_bcastIXadL_ZL6op_addffEEfffJPKfS1_S1_S1_S1_S1_S1_EEvPKT0_PKT1_PT2_iii15HIP_vector_typeIjLj3EESB_SB_SB_SB_iiiiiiiiiiiDpT3_
	.p2align	8
	.type	_ZL11k_bin_bcastIXadL_ZL6op_addffEEfffJPKfS1_S1_S1_S1_S1_S1_EEvPKT0_PKT1_PT2_iii15HIP_vector_typeIjLj3EESB_SB_SB_SB_iiiiiiiiiiiDpT3_,@function
_ZL11k_bin_bcastIXadL_ZL6op_addffEEfffJPKfS1_S1_S1_S1_S1_S1_EEvPKT0_PKT1_PT2_iii15HIP_vector_typeIjLj3EESB_SB_SB_SB_iiiiiiiiiiiDpT3_: ; @_ZL11k_bin_bcastIXadL_ZL6op_addffEEfffJPKfS1_S1_S1_S1_S1_S1_EEvPKT0_PKT1_PT2_iii15HIP_vector_typeIjLj3EESB_SB_SB_SB_iiiiiiiiiiiDpT3_
; %bb.0:
	s_clause 0x1
	s_load_b64 s[2:3], s[0:1], 0xd4
	s_load_b256 s[16:23], s[0:1], 0x18
	v_bfe_u32 v1, v0, 20, 10
	s_add_u32 s24, s0, 0xc8
	s_addc_u32 s25, s1, 0
	s_waitcnt lgkmcnt(0)
	s_and_b32 s3, s3, 0xffff
	s_delay_alu instid0(SALU_CYCLE_1) | instskip(SKIP_3) | instid1(VALU_DEP_3)
	v_mad_u64_u32 v[4:5], null, s15, s3, v[1:2]
	v_and_b32_e32 v2, 0x3ff, v0
	v_bfe_u32 v5, v0, 10, 10
	s_lshr_b32 s3, s2, 16
	v_mul_hi_u32 v1, v4, s19
	s_delay_alu instid0(VALU_DEP_1) | instskip(NEXT) | instid1(VALU_DEP_1)
	v_add_nc_u32_e32 v1, v4, v1
	v_lshrrev_b32_e32 v3, s20, v1
	s_and_b32 s20, s2, 0xffff
	s_delay_alu instid0(VALU_DEP_1) | instskip(SKIP_1) | instid1(VALU_DEP_2)
	v_mul_lo_u32 v6, v3, s21
	v_mad_u64_u32 v[0:1], null, s13, s20, v[2:3]
	v_mad_u64_u32 v[1:2], null, s14, s3, v[5:6]
	v_sub_nc_u32_e32 v4, v4, v6
	s_delay_alu instid0(VALU_DEP_3) | instskip(SKIP_1) | instid1(VALU_DEP_3)
	v_cmp_gt_u32_e32 vcc_lo, s16, v0
	v_cmp_gt_u32_e64 s3, s18, v3
	v_cmp_gt_u32_e64 s4, s21, v4
	;; [unrolled: 1-line block ×3, first 2 shown]
	s_delay_alu instid0(VALU_DEP_1)
	s_and_b32 s2, vcc_lo, s2
	s_delay_alu instid0(VALU_DEP_3) | instid1(SALU_CYCLE_1)
	s_and_b32 s2, s2, s3
	s_delay_alu instid0(VALU_DEP_2) | instid1(SALU_CYCLE_1)
	s_and_b32 s2, s2, s4
	s_delay_alu instid0(SALU_CYCLE_1)
	s_and_saveexec_b32 s3, s2
	s_cbranch_execz .LBB81_6
; %bb.1:
	v_cmp_gt_i32_e32 vcc_lo, s16, v0
	s_and_b32 exec_lo, exec_lo, vcc_lo
	s_cbranch_execz .LBB81_6
; %bb.2:
	s_clause 0x2
	s_load_b256 s[36:43], s[0:1], 0x3c
	s_load_b256 s[4:11], s[0:1], 0x60
	s_load_b128 s[12:15], s[0:1], 0x80
	s_waitcnt lgkmcnt(0)
	s_load_b32 s15, s[24:25], 0x0
	s_clause 0x4
	s_load_b32 s17, s[0:1], 0x5c
	s_load_b64 s[18:19], s[0:1], 0x0
	s_load_b32 s21, s[0:1], 0x38
	s_load_b64 s[2:3], s[0:1], 0x10
	s_load_b256 s[24:31], s[0:1], 0xb0
	v_mul_hi_u32 v2, s36, v1
	v_mul_hi_u32 v5, s39, v3
	;; [unrolled: 1-line block ×3, first 2 shown]
	v_mul_lo_u32 v9, v4, s10
	v_mul_lo_u32 v10, v3, s9
	;; [unrolled: 1-line block ×3, first 2 shown]
	v_mov_b32_e32 v6, 0
	v_mul_lo_u32 v12, v4, s6
	v_add_nc_u32_e32 v2, v1, v2
	v_add_nc_u32_e32 v5, v3, v5
	s_delay_alu instid0(VALU_DEP_4) | instskip(SKIP_1) | instid1(VALU_DEP_4)
	v_dual_mov_b32 v8, v6 :: v_dual_add_nc_u32 v7, v4, v7
	v_mul_lo_u32 v13, v3, s5
	v_lshrrev_b32_e32 v2, s37, v2
	s_delay_alu instid0(VALU_DEP_4) | instskip(NEXT) | instid1(VALU_DEP_4)
	v_lshrrev_b32_e32 v15, s40, v5
	v_lshrrev_b32_e32 v16, s43, v7
	v_add3_u32 v5, v10, v11, v9
	v_mul_lo_u32 v14, v1, s4
	v_mul_lo_u32 v9, v2, s38
	v_mul_lo_u32 v10, v15, s41
	s_waitcnt lgkmcnt(0)
	v_mul_lo_u32 v11, v16, s17
	v_lshlrev_b64 v[5:6], 2, v[5:6]
	s_load_b256 s[36:43], s[0:1], 0x90
	s_cmp_lg_u64 s[18:19], 0
	v_mul_lo_u32 v2, s7, v0
	v_add3_u32 v7, v13, v14, v12
	v_sub_nc_u32_e32 v1, v1, v9
	v_sub_nc_u32_e32 v3, v3, v10
	v_sub_nc_u32_e32 v4, v4, v11
	v_add_co_u32 v9, vcc_lo, s18, v5
	v_add_co_ci_u32_e32 v5, vcc_lo, s19, v6, vcc_lo
	v_lshlrev_b64 v[7:8], 2, v[7:8]
	s_delay_alu instid0(VALU_DEP_4)
	v_mul_lo_u32 v10, v4, s14
	v_mul_lo_u32 v3, v3, s13
	;; [unrolled: 1-line block ×3, first 2 shown]
	s_cselect_b32 vcc_lo, -1, 0
	s_sub_i32 s5, 0, s21
	v_cndmask_b32_e32 v5, 0, v5, vcc_lo
	v_cndmask_b32_e32 v4, 0, v9, vcc_lo
	v_add_co_u32 v6, vcc_lo, s2, v7
	v_add_co_ci_u32_e32 v7, vcc_lo, s3, v8, vcc_lo
	s_delay_alu instid0(VALU_DEP_3)
	v_cmp_ne_u64_e32 vcc_lo, 0, v[4:5]
	v_add3_u32 v8, v3, v10, v1
	s_mul_i32 s2, s15, s20
	s_mov_b32 s3, 0
	s_mul_i32 s4, s2, s7
	s_branch .LBB81_4
.LBB81_3:                               ;   in Loop: Header=BB81_4 Depth=1
	s_or_b32 exec_lo, exec_lo, s1
	v_mul_hi_u32 v3, s22, v0
	v_add_nc_u32_e32 v2, s4, v2
	s_delay_alu instid0(VALU_DEP_2) | instskip(NEXT) | instid1(VALU_DEP_1)
	v_add_nc_u32_e32 v3, v0, v3
	v_lshrrev_b32_e32 v3, s23, v3
	s_waitcnt vmcnt(0)
	s_delay_alu instid0(VALU_DEP_1) | instskip(NEXT) | instid1(VALU_DEP_1)
	v_mad_u64_u32 v[9:10], null, s5, v3, v[0:1]
	v_mul_lo_u32 v3, v9, s11
	s_delay_alu instid0(VALU_DEP_1) | instskip(NEXT) | instid1(VALU_DEP_1)
	v_add_co_u32 v9, s0, v3, v8
	v_add_co_ci_u32_e64 v10, null, 0, 0, s0
	s_delay_alu instid0(VALU_DEP_1) | instskip(SKIP_1) | instid1(VALU_DEP_1)
	v_lshlrev_b64 v[9:10], 2, v[9:10]
	s_waitcnt lgkmcnt(0)
	v_add_co_u32 v11, s0, s36, v9
	s_delay_alu instid0(VALU_DEP_1) | instskip(SKIP_1) | instid1(VALU_DEP_1)
	v_add_co_ci_u32_e64 v12, s0, s37, v10, s0
	v_add_co_u32 v13, s0, s38, v9
	v_add_co_ci_u32_e64 v14, s0, s39, v10, s0
	global_load_b32 v3, v[11:12], off
	v_add_co_u32 v11, s0, s40, v9
	s_delay_alu instid0(VALU_DEP_1) | instskip(SKIP_2) | instid1(VALU_DEP_1)
	v_add_co_ci_u32_e64 v12, s0, s41, v10, s0
	global_load_b32 v15, v[13:14], off
	v_add_co_u32 v13, s0, s42, v9
	v_add_co_ci_u32_e64 v14, s0, s43, v10, s0
	global_load_b32 v16, v[11:12], off
	v_add_co_u32 v11, s0, s24, v9
	s_delay_alu instid0(VALU_DEP_1) | instskip(SKIP_2) | instid1(VALU_DEP_1)
	v_add_co_ci_u32_e64 v12, s0, s25, v10, s0
	global_load_b32 v17, v[13:14], off
	v_add_co_u32 v13, s0, s26, v9
	v_add_co_ci_u32_e64 v14, s0, s27, v10, s0
	global_load_b32 v11, v[11:12], off
	v_add_co_u32 v9, s0, s28, v9
	s_delay_alu instid0(VALU_DEP_1)
	v_add_co_ci_u32_e64 v10, s0, s29, v10, s0
	global_load_b32 v12, v[13:14], off
	global_load_b32 v13, v[9:10], off
	s_waitcnt vmcnt(6)
	v_add_f32_e32 v1, v1, v3
	s_waitcnt vmcnt(5)
	s_delay_alu instid0(VALU_DEP_1) | instskip(SKIP_1) | instid1(VALU_DEP_1)
	v_add_f32_e32 v1, v1, v15
	s_waitcnt vmcnt(4)
	v_add_f32_e32 v1, v1, v16
	s_waitcnt vmcnt(3)
	s_delay_alu instid0(VALU_DEP_1) | instskip(SKIP_2) | instid1(VALU_DEP_2)
	v_add_f32_e32 v3, v1, v17
	v_ashrrev_i32_e32 v1, 31, v0
	s_waitcnt vmcnt(2)
	v_add_f32_e32 v3, v3, v11
	s_delay_alu instid0(VALU_DEP_2) | instskip(SKIP_2) | instid1(VALU_DEP_3)
	v_lshlrev_b64 v[9:10], 2, v[0:1]
	v_add_nc_u32_e32 v0, s2, v0
	s_waitcnt vmcnt(1)
	v_add_f32_e32 v1, v3, v12
	s_delay_alu instid0(VALU_DEP_2) | instskip(NEXT) | instid1(VALU_DEP_4)
	v_cmp_le_i32_e64 s0, s16, v0
	v_add_co_u32 v9, s1, v6, v9
	s_delay_alu instid0(VALU_DEP_1)
	v_add_co_ci_u32_e64 v10, s1, v7, v10, s1
	s_waitcnt vmcnt(0)
	v_add_f32_e32 v1, v1, v13
	s_or_b32 s3, s0, s3
	global_store_b32 v[9:10], v1, off
	s_and_not1_b32 exec_lo, exec_lo, s3
	s_cbranch_execz .LBB81_6
.LBB81_4:                               ; =>This Inner Loop Header: Depth=1
	v_mov_b32_e32 v1, 0
	s_and_saveexec_b32 s1, vcc_lo
	s_cbranch_execz .LBB81_3
; %bb.5:                                ;   in Loop: Header=BB81_4 Depth=1
	v_ashrrev_i32_e32 v3, 31, v2
	s_delay_alu instid0(VALU_DEP_1) | instskip(NEXT) | instid1(VALU_DEP_1)
	v_lshlrev_b64 v[9:10], 2, v[2:3]
	v_add_co_u32 v9, s0, v4, v9
	s_delay_alu instid0(VALU_DEP_1)
	v_add_co_ci_u32_e64 v10, s0, v5, v10, s0
	global_load_b32 v1, v[9:10], off
	s_branch .LBB81_3
.LBB81_6:
	s_nop 0
	s_sendmsg sendmsg(MSG_DEALLOC_VGPRS)
	s_endpgm
	.section	.rodata,"a",@progbits
	.p2align	6, 0x0
	.amdhsa_kernel _ZL11k_bin_bcastIXadL_ZL6op_addffEEfffJPKfS1_S1_S1_S1_S1_S1_EEvPKT0_PKT1_PT2_iii15HIP_vector_typeIjLj3EESB_SB_SB_SB_iiiiiiiiiiiDpT3_
		.amdhsa_group_segment_fixed_size 0
		.amdhsa_private_segment_fixed_size 0
		.amdhsa_kernarg_size 456
		.amdhsa_user_sgpr_count 13
		.amdhsa_user_sgpr_dispatch_ptr 0
		.amdhsa_user_sgpr_queue_ptr 0
		.amdhsa_user_sgpr_kernarg_segment_ptr 1
		.amdhsa_user_sgpr_dispatch_id 0
		.amdhsa_user_sgpr_private_segment_size 0
		.amdhsa_wavefront_size32 1
		.amdhsa_uses_dynamic_stack 0
		.amdhsa_enable_private_segment 0
		.amdhsa_system_sgpr_workgroup_id_x 1
		.amdhsa_system_sgpr_workgroup_id_y 1
		.amdhsa_system_sgpr_workgroup_id_z 1
		.amdhsa_system_sgpr_workgroup_info 0
		.amdhsa_system_vgpr_workitem_id 2
		.amdhsa_next_free_vgpr 18
		.amdhsa_next_free_sgpr 44
		.amdhsa_reserve_vcc 1
		.amdhsa_float_round_mode_32 0
		.amdhsa_float_round_mode_16_64 0
		.amdhsa_float_denorm_mode_32 3
		.amdhsa_float_denorm_mode_16_64 3
		.amdhsa_dx10_clamp 1
		.amdhsa_ieee_mode 1
		.amdhsa_fp16_overflow 0
		.amdhsa_workgroup_processor_mode 1
		.amdhsa_memory_ordered 1
		.amdhsa_forward_progress 0
		.amdhsa_shared_vgpr_count 0
		.amdhsa_exception_fp_ieee_invalid_op 0
		.amdhsa_exception_fp_denorm_src 0
		.amdhsa_exception_fp_ieee_div_zero 0
		.amdhsa_exception_fp_ieee_overflow 0
		.amdhsa_exception_fp_ieee_underflow 0
		.amdhsa_exception_fp_ieee_inexact 0
		.amdhsa_exception_int_div_zero 0
	.end_amdhsa_kernel
	.section	.text._ZL11k_bin_bcastIXadL_ZL6op_addffEEfffJPKfS1_S1_S1_S1_S1_S1_EEvPKT0_PKT1_PT2_iii15HIP_vector_typeIjLj3EESB_SB_SB_SB_iiiiiiiiiiiDpT3_,"axG",@progbits,_ZL11k_bin_bcastIXadL_ZL6op_addffEEfffJPKfS1_S1_S1_S1_S1_S1_EEvPKT0_PKT1_PT2_iii15HIP_vector_typeIjLj3EESB_SB_SB_SB_iiiiiiiiiiiDpT3_,comdat
.Lfunc_end81:
	.size	_ZL11k_bin_bcastIXadL_ZL6op_addffEEfffJPKfS1_S1_S1_S1_S1_S1_EEvPKT0_PKT1_PT2_iii15HIP_vector_typeIjLj3EESB_SB_SB_SB_iiiiiiiiiiiDpT3_, .Lfunc_end81-_ZL11k_bin_bcastIXadL_ZL6op_addffEEfffJPKfS1_S1_S1_S1_S1_S1_EEvPKT0_PKT1_PT2_iii15HIP_vector_typeIjLj3EESB_SB_SB_SB_iiiiiiiiiiiDpT3_
                                        ; -- End function
	.section	.AMDGPU.csdata,"",@progbits
; Kernel info:
; codeLenInByte = 1092
; NumSgprs: 46
; NumVgprs: 18
; ScratchSize: 0
; MemoryBound: 0
; FloatMode: 240
; IeeeMode: 1
; LDSByteSize: 0 bytes/workgroup (compile time only)
; SGPRBlocks: 5
; VGPRBlocks: 2
; NumSGPRsForWavesPerEU: 46
; NumVGPRsForWavesPerEU: 18
; Occupancy: 16
; WaveLimiterHint : 1
; COMPUTE_PGM_RSRC2:SCRATCH_EN: 0
; COMPUTE_PGM_RSRC2:USER_SGPR: 13
; COMPUTE_PGM_RSRC2:TRAP_HANDLER: 0
; COMPUTE_PGM_RSRC2:TGID_X_EN: 1
; COMPUTE_PGM_RSRC2:TGID_Y_EN: 1
; COMPUTE_PGM_RSRC2:TGID_Z_EN: 1
; COMPUTE_PGM_RSRC2:TIDIG_COMP_CNT: 2
	.section	.text._ZL19k_bin_bcast_unravelIXadL_ZL6op_addffEE6__halfS0_S0_JPKS0_S2_S2_S2_S2_S2_S2_EEvPKT0_PKT1_PT2_15HIP_vector_typeIjLj3EESC_SC_jSC_SC_SC_SC_SC_SC_iiiiiiiiiiiDpT3_,"axG",@progbits,_ZL19k_bin_bcast_unravelIXadL_ZL6op_addffEE6__halfS0_S0_JPKS0_S2_S2_S2_S2_S2_S2_EEvPKT0_PKT1_PT2_15HIP_vector_typeIjLj3EESC_SC_jSC_SC_SC_SC_SC_SC_iiiiiiiiiiiDpT3_,comdat
	.globl	_ZL19k_bin_bcast_unravelIXadL_ZL6op_addffEE6__halfS0_S0_JPKS0_S2_S2_S2_S2_S2_S2_EEvPKT0_PKT1_PT2_15HIP_vector_typeIjLj3EESC_SC_jSC_SC_SC_SC_SC_SC_iiiiiiiiiiiDpT3_ ; -- Begin function _ZL19k_bin_bcast_unravelIXadL_ZL6op_addffEE6__halfS0_S0_JPKS0_S2_S2_S2_S2_S2_S2_EEvPKT0_PKT1_PT2_15HIP_vector_typeIjLj3EESC_SC_jSC_SC_SC_SC_SC_SC_iiiiiiiiiiiDpT3_
	.p2align	8
	.type	_ZL19k_bin_bcast_unravelIXadL_ZL6op_addffEE6__halfS0_S0_JPKS0_S2_S2_S2_S2_S2_S2_EEvPKT0_PKT1_PT2_15HIP_vector_typeIjLj3EESC_SC_jSC_SC_SC_SC_SC_SC_iiiiiiiiiiiDpT3_,@function
_ZL19k_bin_bcast_unravelIXadL_ZL6op_addffEE6__halfS0_S0_JPKS0_S2_S2_S2_S2_S2_S2_EEvPKT0_PKT1_PT2_15HIP_vector_typeIjLj3EESC_SC_jSC_SC_SC_SC_SC_SC_iiiiiiiiiiiDpT3_: ; @_ZL19k_bin_bcast_unravelIXadL_ZL6op_addffEE6__halfS0_S0_JPKS0_S2_S2_S2_S2_S2_S2_EEvPKT0_PKT1_PT2_15HIP_vector_typeIjLj3EESC_SC_jSC_SC_SC_SC_SC_SC_iiiiiiiiiiiDpT3_
; %bb.0:
	s_clause 0x1
	s_load_b32 s2, s[0:1], 0xfc
	s_load_b256 s[4:11], s[0:1], 0x38
	s_waitcnt lgkmcnt(0)
	s_and_b32 s2, s2, 0xffff
	s_delay_alu instid0(SALU_CYCLE_1) | instskip(SKIP_3) | instid1(VALU_DEP_1)
	v_mad_u64_u32 v[2:3], null, s15, s2, v[0:1]
	s_clause 0x1
	s_load_b128 s[12:15], s[0:1], 0x18
	s_load_b32 s2, s[0:1], 0x2c
	v_mul_hi_u32 v0, v2, s6
	s_delay_alu instid0(VALU_DEP_1) | instskip(NEXT) | instid1(VALU_DEP_1)
	v_add_nc_u32_e32 v0, v2, v0
	v_lshrrev_b32_e32 v1, s7, v0
	s_delay_alu instid0(VALU_DEP_1) | instskip(NEXT) | instid1(VALU_DEP_1)
	v_mul_lo_u32 v0, v1, s8
	v_sub_nc_u32_e32 v0, v2, v0
	s_delay_alu instid0(VALU_DEP_1) | instskip(NEXT) | instid1(VALU_DEP_1)
	v_mul_hi_u32 v2, v0, s9
	v_add_nc_u32_e32 v2, v0, v2
	s_delay_alu instid0(VALU_DEP_1) | instskip(NEXT) | instid1(VALU_DEP_1)
	v_lshrrev_b32_e32 v2, s10, v2
	v_mul_lo_u32 v3, v2, s11
	v_cmp_gt_u32_e64 s3, s4, v2
	v_cmp_gt_u32_e64 s4, s5, v1
	s_delay_alu instid0(VALU_DEP_3) | instskip(SKIP_1) | instid1(VALU_DEP_1)
	v_sub_nc_u32_e32 v0, v0, v3
	s_waitcnt lgkmcnt(0)
	v_mul_hi_u32 v3, v0, s12
	s_delay_alu instid0(VALU_DEP_1) | instskip(NEXT) | instid1(VALU_DEP_1)
	v_add_nc_u32_e32 v3, v0, v3
	v_lshrrev_b32_e32 v3, s13, v3
	s_delay_alu instid0(VALU_DEP_1) | instskip(SKIP_1) | instid1(VALU_DEP_2)
	v_mul_lo_u32 v4, v3, s14
	v_cmp_gt_u32_e64 s2, s2, v3
	v_sub_nc_u32_e32 v0, v0, v4
	s_delay_alu instid0(VALU_DEP_1) | instskip(NEXT) | instid1(VALU_DEP_3)
	v_cmp_gt_u32_e32 vcc_lo, s14, v0
	s_and_b32 s2, vcc_lo, s2
	s_delay_alu instid0(SALU_CYCLE_1) | instskip(NEXT) | instid1(SALU_CYCLE_1)
	s_and_b32 s2, s2, s3
	s_and_b32 s2, s4, s2
	s_delay_alu instid0(SALU_CYCLE_1)
	s_and_saveexec_b32 s3, s2
	s_cbranch_execz .LBB82_5
; %bb.1:
	s_clause 0x4
	s_load_b64 s[2:3], s[0:1], 0x0
	s_load_b128 s[20:23], s[0:1], 0xa8
	s_load_b256 s[4:11], s[0:1], 0x88
	s_load_b128 s[24:27], s[0:1], 0x78
	s_load_b256 s[12:19], s[0:1], 0x58
	s_waitcnt lgkmcnt(0)
	s_cmp_eq_u64 s[2:3], 0
	s_cbranch_scc1 .LBB82_3
; %bb.2:
	v_mul_lo_u32 v4, v1, s10
	v_mul_lo_u32 v6, v2, s9
	;; [unrolled: 1-line block ×3, first 2 shown]
	v_mov_b32_e32 v5, 0
	s_delay_alu instid0(VALU_DEP_2) | instskip(NEXT) | instid1(VALU_DEP_1)
	v_add3_u32 v4, v6, v4, v7
	v_lshlrev_b64 v[6:7], 1, v[4:5]
	v_mul_lo_u32 v4, v0, s7
	s_delay_alu instid0(VALU_DEP_2) | instskip(NEXT) | instid1(VALU_DEP_3)
	v_add_co_u32 v6, vcc_lo, s2, v6
	v_add_co_ci_u32_e32 v7, vcc_lo, s3, v7, vcc_lo
	s_delay_alu instid0(VALU_DEP_3) | instskip(NEXT) | instid1(VALU_DEP_1)
	v_lshlrev_b64 v[4:5], 1, v[4:5]
	v_add_co_u32 v4, vcc_lo, v6, v4
	s_delay_alu instid0(VALU_DEP_2)
	v_add_co_ci_u32_e32 v5, vcc_lo, v7, v5, vcc_lo
	global_load_u16 v4, v[4:5], off
	s_waitcnt vmcnt(0)
	v_cvt_f32_f16_e32 v4, v4
	s_branch .LBB82_4
.LBB82_3:
	v_mov_b32_e32 v4, 0
.LBB82_4:
	v_mul_hi_u32 v5, s25, v1
	v_mul_hi_u32 v6, s18, v2
	;; [unrolled: 1-line block ×4, first 2 shown]
	s_delay_alu instid0(VALU_DEP_4) | instskip(NEXT) | instid1(VALU_DEP_4)
	v_add_nc_u32_e32 v5, v1, v5
	v_add_nc_u32_e32 v6, v2, v6
	s_delay_alu instid0(VALU_DEP_4) | instskip(NEXT) | instid1(VALU_DEP_4)
	v_add_nc_u32_e32 v7, v3, v7
	v_add_nc_u32_e32 v8, v0, v8
	s_delay_alu instid0(VALU_DEP_4) | instskip(NEXT) | instid1(VALU_DEP_4)
	v_lshrrev_b32_e32 v5, s26, v5
	v_lshrrev_b32_e32 v6, s19, v6
	s_delay_alu instid0(VALU_DEP_4) | instskip(NEXT) | instid1(VALU_DEP_4)
	v_lshrrev_b32_e32 v7, s16, v7
	v_lshrrev_b32_e32 v8, s13, v8
	s_delay_alu instid0(VALU_DEP_4) | instskip(NEXT) | instid1(VALU_DEP_4)
	v_mul_lo_u32 v5, v5, s27
	v_mul_lo_u32 v6, v6, s24
	s_delay_alu instid0(VALU_DEP_4) | instskip(NEXT) | instid1(VALU_DEP_4)
	v_mul_lo_u32 v7, v7, s17
	v_mul_lo_u32 v8, v8, s14
	s_clause 0x1
	s_load_b64 s[2:3], s[0:1], 0xe8
	s_load_b128 s[16:19], s[0:1], 0xd8
	s_delay_alu instid0(VALU_DEP_4) | instskip(NEXT) | instid1(VALU_DEP_4)
	v_sub_nc_u32_e32 v5, v1, v5
	v_sub_nc_u32_e32 v6, v2, v6
	s_delay_alu instid0(VALU_DEP_4) | instskip(NEXT) | instid1(VALU_DEP_4)
	v_sub_nc_u32_e32 v7, v3, v7
	v_sub_nc_u32_e32 v8, v0, v8
	v_mul_lo_u32 v1, v1, s6
	v_mul_lo_u32 v5, v5, s22
	v_mul_lo_u32 v6, v6, s21
	v_mul_lo_u32 v7, v7, s20
	v_mul_lo_u32 v8, v8, s11
	s_clause 0x1
	s_load_b256 s[8:15], s[0:1], 0xb8
	s_load_b64 s[0:1], s[0:1], 0x10
	v_mul_lo_u32 v2, v2, s5
	s_delay_alu instid0(VALU_DEP_3) | instskip(NEXT) | instid1(VALU_DEP_3)
	v_add3_u32 v5, v6, v5, v7
	v_ashrrev_i32_e32 v6, 31, v8
	s_delay_alu instid0(VALU_DEP_2) | instskip(SKIP_1) | instid1(VALU_DEP_2)
	v_ashrrev_i32_e32 v7, 31, v5
	v_add_co_u32 v5, vcc_lo, v8, v5
	v_add_co_ci_u32_e32 v6, vcc_lo, v6, v7, vcc_lo
	s_delay_alu instid0(VALU_DEP_1) | instskip(SKIP_1) | instid1(VALU_DEP_1)
	v_lshlrev_b64 v[5:6], 1, v[5:6]
	s_waitcnt lgkmcnt(0)
	v_add_co_u32 v7, vcc_lo, s8, v5
	s_delay_alu instid0(VALU_DEP_2)
	v_add_co_ci_u32_e32 v8, vcc_lo, s9, v6, vcc_lo
	v_add_co_u32 v9, vcc_lo, s10, v5
	v_add_co_ci_u32_e32 v10, vcc_lo, s11, v6, vcc_lo
	global_load_u16 v11, v[7:8], off
	v_add_co_u32 v7, vcc_lo, s12, v5
	v_add_co_ci_u32_e32 v8, vcc_lo, s13, v6, vcc_lo
	global_load_u16 v12, v[9:10], off
	v_add_co_u32 v9, vcc_lo, s14, v5
	global_load_u16 v13, v[7:8], off
	v_add_co_ci_u32_e32 v10, vcc_lo, s15, v6, vcc_lo
	v_add_co_u32 v7, vcc_lo, s16, v5
	v_add_co_ci_u32_e32 v8, vcc_lo, s17, v6, vcc_lo
	global_load_u16 v14, v[9:10], off
	v_add_co_u32 v9, vcc_lo, s18, v5
	v_add_co_ci_u32_e32 v10, vcc_lo, s19, v6, vcc_lo
	global_load_u16 v7, v[7:8], off
	;; [unrolled: 3-line block ×3, first 2 shown]
	global_load_u16 v5, v[5:6], off
	s_waitcnt vmcnt(6)
	v_cvt_f32_f16_e32 v6, v11
	s_waitcnt vmcnt(5)
	v_cvt_f32_f16_e32 v9, v12
	s_delay_alu instid0(VALU_DEP_2) | instskip(SKIP_2) | instid1(VALU_DEP_2)
	v_add_f32_e32 v4, v4, v6
	s_waitcnt vmcnt(4)
	v_cvt_f32_f16_e32 v6, v13
	v_add_f32_e32 v4, v4, v9
	s_waitcnt vmcnt(3)
	v_cvt_f32_f16_e32 v9, v14
	s_delay_alu instid0(VALU_DEP_2)
	v_add_f32_e32 v4, v4, v6
	v_mul_lo_u32 v6, v3, s4
	v_mov_b32_e32 v3, 0
	s_waitcnt vmcnt(2)
	v_cvt_f32_f16_e32 v7, v7
	v_add_f32_e32 v4, v4, v9
	s_delay_alu instid0(VALU_DEP_4)
	v_add3_u32 v2, v2, v1, v6
	v_mov_b32_e32 v1, v3
	s_waitcnt vmcnt(1)
	v_cvt_f32_f16_e32 v8, v8
	v_add_f32_e32 v4, v4, v7
	s_waitcnt vmcnt(0)
	v_cvt_f32_f16_e32 v5, v5
	v_lshlrev_b64 v[2:3], 1, v[2:3]
	v_lshlrev_b64 v[0:1], 1, v[0:1]
	v_add_f32_e32 v4, v4, v8
	s_delay_alu instid0(VALU_DEP_3) | instskip(NEXT) | instid1(VALU_DEP_2)
	v_add_co_u32 v2, vcc_lo, s0, v2
	v_add_f32_e32 v4, v4, v5
	v_add_co_ci_u32_e32 v3, vcc_lo, s1, v3, vcc_lo
	s_delay_alu instid0(VALU_DEP_3) | instskip(NEXT) | instid1(VALU_DEP_3)
	v_add_co_u32 v0, vcc_lo, v2, v0
	v_cvt_f16_f32_e32 v4, v4
	s_delay_alu instid0(VALU_DEP_3)
	v_add_co_ci_u32_e32 v1, vcc_lo, v3, v1, vcc_lo
	global_store_b16 v[0:1], v4, off
.LBB82_5:
	s_nop 0
	s_sendmsg sendmsg(MSG_DEALLOC_VGPRS)
	s_endpgm
	.section	.rodata,"a",@progbits
	.p2align	6, 0x0
	.amdhsa_kernel _ZL19k_bin_bcast_unravelIXadL_ZL6op_addffEE6__halfS0_S0_JPKS0_S2_S2_S2_S2_S2_S2_EEvPKT0_PKT1_PT2_15HIP_vector_typeIjLj3EESC_SC_jSC_SC_SC_SC_SC_SC_iiiiiiiiiiiDpT3_
		.amdhsa_group_segment_fixed_size 0
		.amdhsa_private_segment_fixed_size 0
		.amdhsa_kernarg_size 496
		.amdhsa_user_sgpr_count 15
		.amdhsa_user_sgpr_dispatch_ptr 0
		.amdhsa_user_sgpr_queue_ptr 0
		.amdhsa_user_sgpr_kernarg_segment_ptr 1
		.amdhsa_user_sgpr_dispatch_id 0
		.amdhsa_user_sgpr_private_segment_size 0
		.amdhsa_wavefront_size32 1
		.amdhsa_uses_dynamic_stack 0
		.amdhsa_enable_private_segment 0
		.amdhsa_system_sgpr_workgroup_id_x 1
		.amdhsa_system_sgpr_workgroup_id_y 0
		.amdhsa_system_sgpr_workgroup_id_z 0
		.amdhsa_system_sgpr_workgroup_info 0
		.amdhsa_system_vgpr_workitem_id 0
		.amdhsa_next_free_vgpr 15
		.amdhsa_next_free_sgpr 28
		.amdhsa_reserve_vcc 1
		.amdhsa_float_round_mode_32 0
		.amdhsa_float_round_mode_16_64 0
		.amdhsa_float_denorm_mode_32 3
		.amdhsa_float_denorm_mode_16_64 3
		.amdhsa_dx10_clamp 1
		.amdhsa_ieee_mode 1
		.amdhsa_fp16_overflow 0
		.amdhsa_workgroup_processor_mode 1
		.amdhsa_memory_ordered 1
		.amdhsa_forward_progress 0
		.amdhsa_shared_vgpr_count 0
		.amdhsa_exception_fp_ieee_invalid_op 0
		.amdhsa_exception_fp_denorm_src 0
		.amdhsa_exception_fp_ieee_div_zero 0
		.amdhsa_exception_fp_ieee_overflow 0
		.amdhsa_exception_fp_ieee_underflow 0
		.amdhsa_exception_fp_ieee_inexact 0
		.amdhsa_exception_int_div_zero 0
	.end_amdhsa_kernel
	.section	.text._ZL19k_bin_bcast_unravelIXadL_ZL6op_addffEE6__halfS0_S0_JPKS0_S2_S2_S2_S2_S2_S2_EEvPKT0_PKT1_PT2_15HIP_vector_typeIjLj3EESC_SC_jSC_SC_SC_SC_SC_SC_iiiiiiiiiiiDpT3_,"axG",@progbits,_ZL19k_bin_bcast_unravelIXadL_ZL6op_addffEE6__halfS0_S0_JPKS0_S2_S2_S2_S2_S2_S2_EEvPKT0_PKT1_PT2_15HIP_vector_typeIjLj3EESC_SC_jSC_SC_SC_SC_SC_SC_iiiiiiiiiiiDpT3_,comdat
.Lfunc_end82:
	.size	_ZL19k_bin_bcast_unravelIXadL_ZL6op_addffEE6__halfS0_S0_JPKS0_S2_S2_S2_S2_S2_S2_EEvPKT0_PKT1_PT2_15HIP_vector_typeIjLj3EESC_SC_jSC_SC_SC_SC_SC_SC_iiiiiiiiiiiDpT3_, .Lfunc_end82-_ZL19k_bin_bcast_unravelIXadL_ZL6op_addffEE6__halfS0_S0_JPKS0_S2_S2_S2_S2_S2_S2_EEvPKT0_PKT1_PT2_15HIP_vector_typeIjLj3EESC_SC_jSC_SC_SC_SC_SC_SC_iiiiiiiiiiiDpT3_
                                        ; -- End function
	.section	.AMDGPU.csdata,"",@progbits
; Kernel info:
; codeLenInByte = 1044
; NumSgprs: 30
; NumVgprs: 15
; ScratchSize: 0
; MemoryBound: 0
; FloatMode: 240
; IeeeMode: 1
; LDSByteSize: 0 bytes/workgroup (compile time only)
; SGPRBlocks: 3
; VGPRBlocks: 1
; NumSGPRsForWavesPerEU: 30
; NumVGPRsForWavesPerEU: 15
; Occupancy: 16
; WaveLimiterHint : 1
; COMPUTE_PGM_RSRC2:SCRATCH_EN: 0
; COMPUTE_PGM_RSRC2:USER_SGPR: 15
; COMPUTE_PGM_RSRC2:TRAP_HANDLER: 0
; COMPUTE_PGM_RSRC2:TGID_X_EN: 1
; COMPUTE_PGM_RSRC2:TGID_Y_EN: 0
; COMPUTE_PGM_RSRC2:TGID_Z_EN: 0
; COMPUTE_PGM_RSRC2:TIDIG_COMP_CNT: 0
	.section	.text._ZL11k_bin_bcastIXadL_ZL6op_addffEE6__halfS0_S0_JPKS0_S2_S2_S2_S2_S2_S2_EEvPKT0_PKT1_PT2_iii15HIP_vector_typeIjLj3EESC_SC_SC_SC_iiiiiiiiiiiDpT3_,"axG",@progbits,_ZL11k_bin_bcastIXadL_ZL6op_addffEE6__halfS0_S0_JPKS0_S2_S2_S2_S2_S2_S2_EEvPKT0_PKT1_PT2_iii15HIP_vector_typeIjLj3EESC_SC_SC_SC_iiiiiiiiiiiDpT3_,comdat
	.globl	_ZL11k_bin_bcastIXadL_ZL6op_addffEE6__halfS0_S0_JPKS0_S2_S2_S2_S2_S2_S2_EEvPKT0_PKT1_PT2_iii15HIP_vector_typeIjLj3EESC_SC_SC_SC_iiiiiiiiiiiDpT3_ ; -- Begin function _ZL11k_bin_bcastIXadL_ZL6op_addffEE6__halfS0_S0_JPKS0_S2_S2_S2_S2_S2_S2_EEvPKT0_PKT1_PT2_iii15HIP_vector_typeIjLj3EESC_SC_SC_SC_iiiiiiiiiiiDpT3_
	.p2align	8
	.type	_ZL11k_bin_bcastIXadL_ZL6op_addffEE6__halfS0_S0_JPKS0_S2_S2_S2_S2_S2_S2_EEvPKT0_PKT1_PT2_iii15HIP_vector_typeIjLj3EESC_SC_SC_SC_iiiiiiiiiiiDpT3_,@function
_ZL11k_bin_bcastIXadL_ZL6op_addffEE6__halfS0_S0_JPKS0_S2_S2_S2_S2_S2_S2_EEvPKT0_PKT1_PT2_iii15HIP_vector_typeIjLj3EESC_SC_SC_SC_iiiiiiiiiiiDpT3_: ; @_ZL11k_bin_bcastIXadL_ZL6op_addffEE6__halfS0_S0_JPKS0_S2_S2_S2_S2_S2_S2_EEvPKT0_PKT1_PT2_iii15HIP_vector_typeIjLj3EESC_SC_SC_SC_iiiiiiiiiiiDpT3_
; %bb.0:
	s_clause 0x1
	s_load_b64 s[2:3], s[0:1], 0xd4
	s_load_b256 s[16:23], s[0:1], 0x18
	v_bfe_u32 v1, v0, 20, 10
	s_add_u32 s24, s0, 0xc8
	s_addc_u32 s25, s1, 0
	s_waitcnt lgkmcnt(0)
	s_and_b32 s3, s3, 0xffff
	s_delay_alu instid0(SALU_CYCLE_1) | instskip(SKIP_3) | instid1(VALU_DEP_3)
	v_mad_u64_u32 v[4:5], null, s15, s3, v[1:2]
	v_and_b32_e32 v2, 0x3ff, v0
	v_bfe_u32 v5, v0, 10, 10
	s_lshr_b32 s3, s2, 16
	v_mul_hi_u32 v1, v4, s19
	s_delay_alu instid0(VALU_DEP_1) | instskip(NEXT) | instid1(VALU_DEP_1)
	v_add_nc_u32_e32 v1, v4, v1
	v_lshrrev_b32_e32 v3, s20, v1
	s_and_b32 s20, s2, 0xffff
	s_delay_alu instid0(VALU_DEP_1) | instskip(SKIP_1) | instid1(VALU_DEP_2)
	v_mul_lo_u32 v6, v3, s21
	v_mad_u64_u32 v[0:1], null, s13, s20, v[2:3]
	v_mad_u64_u32 v[1:2], null, s14, s3, v[5:6]
	v_sub_nc_u32_e32 v4, v4, v6
	s_delay_alu instid0(VALU_DEP_3) | instskip(SKIP_1) | instid1(VALU_DEP_3)
	v_cmp_gt_u32_e32 vcc_lo, s16, v0
	v_cmp_gt_u32_e64 s3, s18, v3
	v_cmp_gt_u32_e64 s4, s21, v4
	;; [unrolled: 1-line block ×3, first 2 shown]
	s_delay_alu instid0(VALU_DEP_1)
	s_and_b32 s2, vcc_lo, s2
	s_delay_alu instid0(VALU_DEP_3) | instid1(SALU_CYCLE_1)
	s_and_b32 s2, s2, s3
	s_delay_alu instid0(VALU_DEP_2) | instid1(SALU_CYCLE_1)
	s_and_b32 s2, s2, s4
	s_delay_alu instid0(SALU_CYCLE_1)
	s_and_saveexec_b32 s3, s2
	s_cbranch_execz .LBB83_6
; %bb.1:
	v_cmp_gt_i32_e32 vcc_lo, s16, v0
	s_and_b32 exec_lo, exec_lo, vcc_lo
	s_cbranch_execz .LBB83_6
; %bb.2:
	s_clause 0x2
	s_load_b256 s[36:43], s[0:1], 0x3c
	s_load_b256 s[4:11], s[0:1], 0x60
	s_load_b128 s[12:15], s[0:1], 0x80
	s_waitcnt lgkmcnt(0)
	s_load_b32 s15, s[24:25], 0x0
	s_clause 0x4
	s_load_b32 s17, s[0:1], 0x5c
	s_load_b64 s[18:19], s[0:1], 0x0
	s_load_b32 s21, s[0:1], 0x38
	s_load_b64 s[2:3], s[0:1], 0x10
	s_load_b256 s[24:31], s[0:1], 0xb0
	v_mul_hi_u32 v2, s36, v1
	v_mul_hi_u32 v5, s39, v3
	;; [unrolled: 1-line block ×3, first 2 shown]
	v_mul_lo_u32 v9, v4, s10
	v_mul_lo_u32 v10, v3, s9
	v_mul_lo_u32 v11, v1, s8
	v_mov_b32_e32 v6, 0
	v_mul_lo_u32 v12, v4, s6
	v_add_nc_u32_e32 v2, v1, v2
	v_add_nc_u32_e32 v5, v3, v5
	s_delay_alu instid0(VALU_DEP_4) | instskip(SKIP_1) | instid1(VALU_DEP_4)
	v_dual_mov_b32 v8, v6 :: v_dual_add_nc_u32 v7, v4, v7
	v_mul_lo_u32 v13, v3, s5
	v_lshrrev_b32_e32 v2, s37, v2
	s_delay_alu instid0(VALU_DEP_4) | instskip(NEXT) | instid1(VALU_DEP_4)
	v_lshrrev_b32_e32 v15, s40, v5
	v_lshrrev_b32_e32 v16, s43, v7
	v_add3_u32 v5, v10, v11, v9
	v_mul_lo_u32 v14, v1, s4
	v_mul_lo_u32 v9, v2, s38
	;; [unrolled: 1-line block ×3, first 2 shown]
	s_waitcnt lgkmcnt(0)
	v_mul_lo_u32 v11, v16, s17
	v_lshlrev_b64 v[5:6], 1, v[5:6]
	s_load_b256 s[36:43], s[0:1], 0x90
	s_cmp_lg_u64 s[18:19], 0
	v_mul_lo_u32 v2, s7, v0
	v_add3_u32 v7, v13, v14, v12
	v_sub_nc_u32_e32 v1, v1, v9
	v_sub_nc_u32_e32 v3, v3, v10
	;; [unrolled: 1-line block ×3, first 2 shown]
	v_add_co_u32 v9, vcc_lo, s18, v5
	v_add_co_ci_u32_e32 v5, vcc_lo, s19, v6, vcc_lo
	v_lshlrev_b64 v[7:8], 1, v[7:8]
	s_delay_alu instid0(VALU_DEP_4)
	v_mul_lo_u32 v10, v4, s14
	v_mul_lo_u32 v3, v3, s13
	;; [unrolled: 1-line block ×3, first 2 shown]
	s_cselect_b32 vcc_lo, -1, 0
	s_sub_i32 s5, 0, s21
	v_cndmask_b32_e32 v5, 0, v5, vcc_lo
	v_cndmask_b32_e32 v4, 0, v9, vcc_lo
	v_add_co_u32 v6, vcc_lo, s2, v7
	v_add_co_ci_u32_e32 v7, vcc_lo, s3, v8, vcc_lo
	s_delay_alu instid0(VALU_DEP_3)
	v_cmp_ne_u64_e32 vcc_lo, 0, v[4:5]
	v_add3_u32 v8, v3, v10, v1
	s_mul_i32 s2, s15, s20
	s_mov_b32 s3, 0
	s_mul_i32 s4, s2, s7
	s_branch .LBB83_4
.LBB83_3:                               ;   in Loop: Header=BB83_4 Depth=1
	s_or_b32 exec_lo, exec_lo, s1
	v_mul_hi_u32 v3, s22, v0
	v_add_nc_u32_e32 v2, s4, v2
	s_delay_alu instid0(VALU_DEP_2) | instskip(NEXT) | instid1(VALU_DEP_1)
	v_add_nc_u32_e32 v3, v0, v3
	v_lshrrev_b32_e32 v3, s23, v3
	s_delay_alu instid0(VALU_DEP_1) | instskip(NEXT) | instid1(VALU_DEP_1)
	v_mad_u64_u32 v[9:10], null, s5, v3, v[0:1]
	v_mul_lo_u32 v3, v9, s11
	s_delay_alu instid0(VALU_DEP_1) | instskip(NEXT) | instid1(VALU_DEP_1)
	v_add_co_u32 v9, s0, v3, v8
	v_add_co_ci_u32_e64 v10, null, 0, 0, s0
	s_delay_alu instid0(VALU_DEP_1) | instskip(SKIP_1) | instid1(VALU_DEP_1)
	v_lshlrev_b64 v[9:10], 1, v[9:10]
	s_waitcnt lgkmcnt(0)
	v_add_co_u32 v11, s0, s36, v9
	s_delay_alu instid0(VALU_DEP_1) | instskip(SKIP_1) | instid1(VALU_DEP_1)
	v_add_co_ci_u32_e64 v12, s0, s37, v10, s0
	v_add_co_u32 v13, s0, s38, v9
	v_add_co_ci_u32_e64 v14, s0, s39, v10, s0
	global_load_u16 v3, v[11:12], off
	v_add_co_u32 v11, s0, s40, v9
	s_delay_alu instid0(VALU_DEP_1) | instskip(SKIP_2) | instid1(VALU_DEP_1)
	v_add_co_ci_u32_e64 v12, s0, s41, v10, s0
	global_load_u16 v15, v[13:14], off
	v_add_co_u32 v13, s0, s42, v9
	v_add_co_ci_u32_e64 v14, s0, s43, v10, s0
	global_load_u16 v16, v[11:12], off
	v_add_co_u32 v11, s0, s24, v9
	s_delay_alu instid0(VALU_DEP_1) | instskip(SKIP_2) | instid1(VALU_DEP_1)
	v_add_co_ci_u32_e64 v12, s0, s25, v10, s0
	global_load_u16 v17, v[13:14], off
	v_add_co_u32 v13, s0, s26, v9
	v_add_co_ci_u32_e64 v14, s0, s27, v10, s0
	global_load_u16 v11, v[11:12], off
	v_add_co_u32 v9, s0, s28, v9
	s_delay_alu instid0(VALU_DEP_1)
	v_add_co_ci_u32_e64 v10, s0, s29, v10, s0
	global_load_u16 v12, v[13:14], off
	global_load_u16 v9, v[9:10], off
	s_waitcnt vmcnt(6)
	v_cvt_f32_f16_e32 v3, v3
	s_waitcnt vmcnt(5)
	v_cvt_f32_f16_e32 v10, v15
	s_delay_alu instid0(VALU_DEP_2) | instskip(SKIP_2) | instid1(VALU_DEP_2)
	v_add_f32_e32 v1, v1, v3
	s_waitcnt vmcnt(4)
	v_cvt_f32_f16_e32 v3, v16
	v_add_f32_e32 v1, v1, v10
	s_waitcnt vmcnt(3)
	v_cvt_f32_f16_e32 v10, v17
	s_delay_alu instid0(VALU_DEP_2) | instskip(SKIP_2) | instid1(VALU_DEP_2)
	v_add_f32_e32 v1, v1, v3
	s_waitcnt vmcnt(2)
	v_cvt_f32_f16_e32 v3, v11
	v_add_f32_e32 v1, v1, v10
	s_waitcnt vmcnt(1)
	v_cvt_f32_f16_e32 v10, v12
	s_delay_alu instid0(VALU_DEP_2) | instskip(SKIP_3) | instid1(VALU_DEP_3)
	v_add_f32_e32 v3, v1, v3
	v_ashrrev_i32_e32 v1, 31, v0
	s_waitcnt vmcnt(0)
	v_cvt_f32_f16_e32 v11, v9
	v_add_f32_e32 v3, v3, v10
	s_delay_alu instid0(VALU_DEP_3) | instskip(NEXT) | instid1(VALU_DEP_2)
	v_lshlrev_b64 v[9:10], 1, v[0:1]
	v_dual_add_f32 v1, v3, v11 :: v_dual_add_nc_u32 v0, s2, v0
	s_delay_alu instid0(VALU_DEP_1) | instskip(NEXT) | instid1(VALU_DEP_3)
	v_cmp_le_i32_e64 s0, s16, v0
	v_add_co_u32 v9, s1, v6, v9
	s_delay_alu instid0(VALU_DEP_3) | instskip(SKIP_1) | instid1(VALU_DEP_4)
	v_cvt_f16_f32_e32 v1, v1
	v_add_co_ci_u32_e64 v10, s1, v7, v10, s1
	s_or_b32 s3, s0, s3
	global_store_b16 v[9:10], v1, off
	s_and_not1_b32 exec_lo, exec_lo, s3
	s_cbranch_execz .LBB83_6
.LBB83_4:                               ; =>This Inner Loop Header: Depth=1
	v_mov_b32_e32 v1, 0
	s_and_saveexec_b32 s1, vcc_lo
	s_cbranch_execz .LBB83_3
; %bb.5:                                ;   in Loop: Header=BB83_4 Depth=1
	v_ashrrev_i32_e32 v3, 31, v2
	s_delay_alu instid0(VALU_DEP_1) | instskip(NEXT) | instid1(VALU_DEP_1)
	v_lshlrev_b64 v[9:10], 1, v[2:3]
	v_add_co_u32 v9, s0, v4, v9
	s_delay_alu instid0(VALU_DEP_1)
	v_add_co_ci_u32_e64 v10, s0, v5, v10, s0
	global_load_u16 v1, v[9:10], off
	s_waitcnt vmcnt(0)
	v_cvt_f32_f16_e32 v1, v1
	s_branch .LBB83_3
.LBB83_6:
	s_nop 0
	s_sendmsg sendmsg(MSG_DEALLOC_VGPRS)
	s_endpgm
	.section	.rodata,"a",@progbits
	.p2align	6, 0x0
	.amdhsa_kernel _ZL11k_bin_bcastIXadL_ZL6op_addffEE6__halfS0_S0_JPKS0_S2_S2_S2_S2_S2_S2_EEvPKT0_PKT1_PT2_iii15HIP_vector_typeIjLj3EESC_SC_SC_SC_iiiiiiiiiiiDpT3_
		.amdhsa_group_segment_fixed_size 0
		.amdhsa_private_segment_fixed_size 0
		.amdhsa_kernarg_size 456
		.amdhsa_user_sgpr_count 13
		.amdhsa_user_sgpr_dispatch_ptr 0
		.amdhsa_user_sgpr_queue_ptr 0
		.amdhsa_user_sgpr_kernarg_segment_ptr 1
		.amdhsa_user_sgpr_dispatch_id 0
		.amdhsa_user_sgpr_private_segment_size 0
		.amdhsa_wavefront_size32 1
		.amdhsa_uses_dynamic_stack 0
		.amdhsa_enable_private_segment 0
		.amdhsa_system_sgpr_workgroup_id_x 1
		.amdhsa_system_sgpr_workgroup_id_y 1
		.amdhsa_system_sgpr_workgroup_id_z 1
		.amdhsa_system_sgpr_workgroup_info 0
		.amdhsa_system_vgpr_workitem_id 2
		.amdhsa_next_free_vgpr 18
		.amdhsa_next_free_sgpr 44
		.amdhsa_reserve_vcc 1
		.amdhsa_float_round_mode_32 0
		.amdhsa_float_round_mode_16_64 0
		.amdhsa_float_denorm_mode_32 3
		.amdhsa_float_denorm_mode_16_64 3
		.amdhsa_dx10_clamp 1
		.amdhsa_ieee_mode 1
		.amdhsa_fp16_overflow 0
		.amdhsa_workgroup_processor_mode 1
		.amdhsa_memory_ordered 1
		.amdhsa_forward_progress 0
		.amdhsa_shared_vgpr_count 0
		.amdhsa_exception_fp_ieee_invalid_op 0
		.amdhsa_exception_fp_denorm_src 0
		.amdhsa_exception_fp_ieee_div_zero 0
		.amdhsa_exception_fp_ieee_overflow 0
		.amdhsa_exception_fp_ieee_underflow 0
		.amdhsa_exception_fp_ieee_inexact 0
		.amdhsa_exception_int_div_zero 0
	.end_amdhsa_kernel
	.section	.text._ZL11k_bin_bcastIXadL_ZL6op_addffEE6__halfS0_S0_JPKS0_S2_S2_S2_S2_S2_S2_EEvPKT0_PKT1_PT2_iii15HIP_vector_typeIjLj3EESC_SC_SC_SC_iiiiiiiiiiiDpT3_,"axG",@progbits,_ZL11k_bin_bcastIXadL_ZL6op_addffEE6__halfS0_S0_JPKS0_S2_S2_S2_S2_S2_S2_EEvPKT0_PKT1_PT2_iii15HIP_vector_typeIjLj3EESC_SC_SC_SC_iiiiiiiiiiiDpT3_,comdat
.Lfunc_end83:
	.size	_ZL11k_bin_bcastIXadL_ZL6op_addffEE6__halfS0_S0_JPKS0_S2_S2_S2_S2_S2_S2_EEvPKT0_PKT1_PT2_iii15HIP_vector_typeIjLj3EESC_SC_SC_SC_iiiiiiiiiiiDpT3_, .Lfunc_end83-_ZL11k_bin_bcastIXadL_ZL6op_addffEE6__halfS0_S0_JPKS0_S2_S2_S2_S2_S2_S2_EEvPKT0_PKT1_PT2_iii15HIP_vector_typeIjLj3EESC_SC_SC_SC_iiiiiiiiiiiDpT3_
                                        ; -- End function
	.section	.AMDGPU.csdata,"",@progbits
; Kernel info:
; codeLenInByte = 1132
; NumSgprs: 46
; NumVgprs: 18
; ScratchSize: 0
; MemoryBound: 0
; FloatMode: 240
; IeeeMode: 1
; LDSByteSize: 0 bytes/workgroup (compile time only)
; SGPRBlocks: 5
; VGPRBlocks: 2
; NumSGPRsForWavesPerEU: 46
; NumVGPRsForWavesPerEU: 18
; Occupancy: 16
; WaveLimiterHint : 1
; COMPUTE_PGM_RSRC2:SCRATCH_EN: 0
; COMPUTE_PGM_RSRC2:USER_SGPR: 13
; COMPUTE_PGM_RSRC2:TRAP_HANDLER: 0
; COMPUTE_PGM_RSRC2:TGID_X_EN: 1
; COMPUTE_PGM_RSRC2:TGID_Y_EN: 1
; COMPUTE_PGM_RSRC2:TGID_Z_EN: 1
; COMPUTE_PGM_RSRC2:TIDIG_COMP_CNT: 2
	.section	.text._ZL19k_bin_bcast_unravelIXadL_ZL6op_addffEE6__halffS0_JPKfS2_S2_S2_S2_S2_S2_EEvPKT0_PKT1_PT2_15HIP_vector_typeIjLj3EESC_SC_jSC_SC_SC_SC_SC_SC_iiiiiiiiiiiDpT3_,"axG",@progbits,_ZL19k_bin_bcast_unravelIXadL_ZL6op_addffEE6__halffS0_JPKfS2_S2_S2_S2_S2_S2_EEvPKT0_PKT1_PT2_15HIP_vector_typeIjLj3EESC_SC_jSC_SC_SC_SC_SC_SC_iiiiiiiiiiiDpT3_,comdat
	.globl	_ZL19k_bin_bcast_unravelIXadL_ZL6op_addffEE6__halffS0_JPKfS2_S2_S2_S2_S2_S2_EEvPKT0_PKT1_PT2_15HIP_vector_typeIjLj3EESC_SC_jSC_SC_SC_SC_SC_SC_iiiiiiiiiiiDpT3_ ; -- Begin function _ZL19k_bin_bcast_unravelIXadL_ZL6op_addffEE6__halffS0_JPKfS2_S2_S2_S2_S2_S2_EEvPKT0_PKT1_PT2_15HIP_vector_typeIjLj3EESC_SC_jSC_SC_SC_SC_SC_SC_iiiiiiiiiiiDpT3_
	.p2align	8
	.type	_ZL19k_bin_bcast_unravelIXadL_ZL6op_addffEE6__halffS0_JPKfS2_S2_S2_S2_S2_S2_EEvPKT0_PKT1_PT2_15HIP_vector_typeIjLj3EESC_SC_jSC_SC_SC_SC_SC_SC_iiiiiiiiiiiDpT3_,@function
_ZL19k_bin_bcast_unravelIXadL_ZL6op_addffEE6__halffS0_JPKfS2_S2_S2_S2_S2_S2_EEvPKT0_PKT1_PT2_15HIP_vector_typeIjLj3EESC_SC_jSC_SC_SC_SC_SC_SC_iiiiiiiiiiiDpT3_: ; @_ZL19k_bin_bcast_unravelIXadL_ZL6op_addffEE6__halffS0_JPKfS2_S2_S2_S2_S2_S2_EEvPKT0_PKT1_PT2_15HIP_vector_typeIjLj3EESC_SC_jSC_SC_SC_SC_SC_SC_iiiiiiiiiiiDpT3_
; %bb.0:
	s_clause 0x1
	s_load_b32 s2, s[0:1], 0xfc
	s_load_b256 s[4:11], s[0:1], 0x38
	s_waitcnt lgkmcnt(0)
	s_and_b32 s2, s2, 0xffff
	s_delay_alu instid0(SALU_CYCLE_1) | instskip(SKIP_3) | instid1(VALU_DEP_1)
	v_mad_u64_u32 v[2:3], null, s15, s2, v[0:1]
	s_clause 0x1
	s_load_b128 s[12:15], s[0:1], 0x18
	s_load_b32 s2, s[0:1], 0x2c
	v_mul_hi_u32 v0, v2, s6
	s_delay_alu instid0(VALU_DEP_1) | instskip(NEXT) | instid1(VALU_DEP_1)
	v_add_nc_u32_e32 v0, v2, v0
	v_lshrrev_b32_e32 v1, s7, v0
	s_delay_alu instid0(VALU_DEP_1) | instskip(NEXT) | instid1(VALU_DEP_1)
	v_mul_lo_u32 v0, v1, s8
	v_sub_nc_u32_e32 v0, v2, v0
	s_delay_alu instid0(VALU_DEP_1) | instskip(NEXT) | instid1(VALU_DEP_1)
	v_mul_hi_u32 v2, v0, s9
	v_add_nc_u32_e32 v2, v0, v2
	s_delay_alu instid0(VALU_DEP_1) | instskip(NEXT) | instid1(VALU_DEP_1)
	v_lshrrev_b32_e32 v2, s10, v2
	v_mul_lo_u32 v3, v2, s11
	v_cmp_gt_u32_e64 s3, s4, v2
	v_cmp_gt_u32_e64 s4, s5, v1
	s_delay_alu instid0(VALU_DEP_3) | instskip(SKIP_1) | instid1(VALU_DEP_1)
	v_sub_nc_u32_e32 v0, v0, v3
	s_waitcnt lgkmcnt(0)
	v_mul_hi_u32 v3, v0, s12
	s_delay_alu instid0(VALU_DEP_1) | instskip(NEXT) | instid1(VALU_DEP_1)
	v_add_nc_u32_e32 v3, v0, v3
	v_lshrrev_b32_e32 v3, s13, v3
	s_delay_alu instid0(VALU_DEP_1) | instskip(SKIP_1) | instid1(VALU_DEP_2)
	v_mul_lo_u32 v4, v3, s14
	v_cmp_gt_u32_e64 s2, s2, v3
	v_sub_nc_u32_e32 v0, v0, v4
	s_delay_alu instid0(VALU_DEP_1) | instskip(NEXT) | instid1(VALU_DEP_3)
	v_cmp_gt_u32_e32 vcc_lo, s14, v0
	s_and_b32 s2, vcc_lo, s2
	s_delay_alu instid0(SALU_CYCLE_1) | instskip(NEXT) | instid1(SALU_CYCLE_1)
	s_and_b32 s2, s2, s3
	s_and_b32 s2, s4, s2
	s_delay_alu instid0(SALU_CYCLE_1)
	s_and_saveexec_b32 s3, s2
	s_cbranch_execz .LBB84_5
; %bb.1:
	s_clause 0x4
	s_load_b64 s[2:3], s[0:1], 0x0
	s_load_b128 s[20:23], s[0:1], 0xa8
	s_load_b256 s[4:11], s[0:1], 0x88
	s_load_b128 s[24:27], s[0:1], 0x78
	s_load_b256 s[12:19], s[0:1], 0x58
	s_waitcnt lgkmcnt(0)
	s_cmp_eq_u64 s[2:3], 0
	s_cbranch_scc1 .LBB84_3
; %bb.2:
	v_mul_lo_u32 v4, v1, s10
	v_mul_lo_u32 v6, v2, s9
	;; [unrolled: 1-line block ×3, first 2 shown]
	v_mov_b32_e32 v5, 0
	s_delay_alu instid0(VALU_DEP_2) | instskip(NEXT) | instid1(VALU_DEP_1)
	v_add3_u32 v4, v6, v4, v7
	v_lshlrev_b64 v[6:7], 1, v[4:5]
	v_mul_lo_u32 v4, v0, s7
	s_delay_alu instid0(VALU_DEP_2) | instskip(NEXT) | instid1(VALU_DEP_3)
	v_add_co_u32 v6, vcc_lo, s2, v6
	v_add_co_ci_u32_e32 v7, vcc_lo, s3, v7, vcc_lo
	s_delay_alu instid0(VALU_DEP_3) | instskip(NEXT) | instid1(VALU_DEP_1)
	v_lshlrev_b64 v[4:5], 1, v[4:5]
	v_add_co_u32 v4, vcc_lo, v6, v4
	s_delay_alu instid0(VALU_DEP_2)
	v_add_co_ci_u32_e32 v5, vcc_lo, v7, v5, vcc_lo
	global_load_u16 v4, v[4:5], off
	s_waitcnt vmcnt(0)
	v_cvt_f32_f16_e32 v4, v4
	s_branch .LBB84_4
.LBB84_3:
	v_mov_b32_e32 v4, 0
.LBB84_4:
	v_mul_hi_u32 v5, s25, v1
	v_mul_hi_u32 v6, s18, v2
	v_mul_hi_u32 v7, s15, v3
	v_mul_hi_u32 v8, s12, v0
	s_delay_alu instid0(VALU_DEP_4) | instskip(NEXT) | instid1(VALU_DEP_4)
	v_add_nc_u32_e32 v5, v1, v5
	v_add_nc_u32_e32 v6, v2, v6
	s_delay_alu instid0(VALU_DEP_4) | instskip(NEXT) | instid1(VALU_DEP_4)
	v_add_nc_u32_e32 v7, v3, v7
	v_add_nc_u32_e32 v8, v0, v8
	s_delay_alu instid0(VALU_DEP_4) | instskip(NEXT) | instid1(VALU_DEP_4)
	v_lshrrev_b32_e32 v5, s26, v5
	v_lshrrev_b32_e32 v6, s19, v6
	s_delay_alu instid0(VALU_DEP_4) | instskip(NEXT) | instid1(VALU_DEP_4)
	v_lshrrev_b32_e32 v7, s16, v7
	v_lshrrev_b32_e32 v8, s13, v8
	s_delay_alu instid0(VALU_DEP_4) | instskip(NEXT) | instid1(VALU_DEP_4)
	v_mul_lo_u32 v5, v5, s27
	v_mul_lo_u32 v6, v6, s24
	s_delay_alu instid0(VALU_DEP_4) | instskip(NEXT) | instid1(VALU_DEP_4)
	v_mul_lo_u32 v7, v7, s17
	v_mul_lo_u32 v8, v8, s14
	s_clause 0x1
	s_load_b64 s[2:3], s[0:1], 0xe8
	s_load_b128 s[16:19], s[0:1], 0xd8
	s_delay_alu instid0(VALU_DEP_4) | instskip(NEXT) | instid1(VALU_DEP_4)
	v_sub_nc_u32_e32 v5, v1, v5
	v_sub_nc_u32_e32 v6, v2, v6
	s_delay_alu instid0(VALU_DEP_4) | instskip(NEXT) | instid1(VALU_DEP_4)
	v_sub_nc_u32_e32 v7, v3, v7
	v_sub_nc_u32_e32 v8, v0, v8
	v_mul_lo_u32 v1, v1, s6
	v_mul_lo_u32 v5, v5, s22
	;; [unrolled: 1-line block ×5, first 2 shown]
	s_clause 0x1
	s_load_b256 s[8:15], s[0:1], 0xb8
	s_load_b64 s[0:1], s[0:1], 0x10
	v_mul_lo_u32 v2, v2, s5
	s_delay_alu instid0(VALU_DEP_3) | instskip(NEXT) | instid1(VALU_DEP_3)
	v_add3_u32 v5, v6, v5, v7
	v_ashrrev_i32_e32 v6, 31, v8
	s_delay_alu instid0(VALU_DEP_2) | instskip(SKIP_1) | instid1(VALU_DEP_2)
	v_ashrrev_i32_e32 v7, 31, v5
	v_add_co_u32 v5, vcc_lo, v8, v5
	v_add_co_ci_u32_e32 v6, vcc_lo, v6, v7, vcc_lo
	s_delay_alu instid0(VALU_DEP_1) | instskip(SKIP_1) | instid1(VALU_DEP_1)
	v_lshlrev_b64 v[5:6], 2, v[5:6]
	s_waitcnt lgkmcnt(0)
	v_add_co_u32 v7, vcc_lo, s8, v5
	s_delay_alu instid0(VALU_DEP_2)
	v_add_co_ci_u32_e32 v8, vcc_lo, s9, v6, vcc_lo
	v_add_co_u32 v9, vcc_lo, s10, v5
	v_add_co_ci_u32_e32 v10, vcc_lo, s11, v6, vcc_lo
	global_load_b32 v11, v[7:8], off
	v_add_co_u32 v7, vcc_lo, s12, v5
	v_add_co_ci_u32_e32 v8, vcc_lo, s13, v6, vcc_lo
	global_load_b32 v12, v[9:10], off
	;; [unrolled: 3-line block ×6, first 2 shown]
	global_load_b32 v5, v[5:6], off
	v_mul_lo_u32 v6, v3, s4
	v_mov_b32_e32 v3, 0
	s_delay_alu instid0(VALU_DEP_2) | instskip(NEXT) | instid1(VALU_DEP_2)
	v_add3_u32 v2, v2, v1, v6
	v_mov_b32_e32 v1, v3
	s_delay_alu instid0(VALU_DEP_2) | instskip(NEXT) | instid1(VALU_DEP_2)
	v_lshlrev_b64 v[2:3], 1, v[2:3]
	v_lshlrev_b64 v[0:1], 1, v[0:1]
	s_delay_alu instid0(VALU_DEP_2) | instskip(NEXT) | instid1(VALU_DEP_3)
	v_add_co_u32 v2, vcc_lo, s0, v2
	v_add_co_ci_u32_e32 v3, vcc_lo, s1, v3, vcc_lo
	s_delay_alu instid0(VALU_DEP_2) | instskip(NEXT) | instid1(VALU_DEP_2)
	v_add_co_u32 v0, vcc_lo, v2, v0
	v_add_co_ci_u32_e32 v1, vcc_lo, v3, v1, vcc_lo
	s_waitcnt vmcnt(6)
	v_add_f32_e32 v4, v4, v11
	s_waitcnt vmcnt(5)
	s_delay_alu instid0(VALU_DEP_1) | instskip(SKIP_1) | instid1(VALU_DEP_1)
	v_add_f32_e32 v4, v4, v12
	s_waitcnt vmcnt(4)
	v_add_f32_e32 v4, v4, v13
	s_waitcnt vmcnt(3)
	s_delay_alu instid0(VALU_DEP_1) | instskip(SKIP_1) | instid1(VALU_DEP_1)
	v_add_f32_e32 v4, v4, v14
	;; [unrolled: 5-line block ×3, first 2 shown]
	s_waitcnt vmcnt(0)
	v_add_f32_e32 v4, v4, v5
	s_delay_alu instid0(VALU_DEP_1)
	v_cvt_f16_f32_e32 v4, v4
	global_store_b16 v[0:1], v4, off
.LBB84_5:
	s_nop 0
	s_sendmsg sendmsg(MSG_DEALLOC_VGPRS)
	s_endpgm
	.section	.rodata,"a",@progbits
	.p2align	6, 0x0
	.amdhsa_kernel _ZL19k_bin_bcast_unravelIXadL_ZL6op_addffEE6__halffS0_JPKfS2_S2_S2_S2_S2_S2_EEvPKT0_PKT1_PT2_15HIP_vector_typeIjLj3EESC_SC_jSC_SC_SC_SC_SC_SC_iiiiiiiiiiiDpT3_
		.amdhsa_group_segment_fixed_size 0
		.amdhsa_private_segment_fixed_size 0
		.amdhsa_kernarg_size 496
		.amdhsa_user_sgpr_count 15
		.amdhsa_user_sgpr_dispatch_ptr 0
		.amdhsa_user_sgpr_queue_ptr 0
		.amdhsa_user_sgpr_kernarg_segment_ptr 1
		.amdhsa_user_sgpr_dispatch_id 0
		.amdhsa_user_sgpr_private_segment_size 0
		.amdhsa_wavefront_size32 1
		.amdhsa_uses_dynamic_stack 0
		.amdhsa_enable_private_segment 0
		.amdhsa_system_sgpr_workgroup_id_x 1
		.amdhsa_system_sgpr_workgroup_id_y 0
		.amdhsa_system_sgpr_workgroup_id_z 0
		.amdhsa_system_sgpr_workgroup_info 0
		.amdhsa_system_vgpr_workitem_id 0
		.amdhsa_next_free_vgpr 15
		.amdhsa_next_free_sgpr 28
		.amdhsa_reserve_vcc 1
		.amdhsa_float_round_mode_32 0
		.amdhsa_float_round_mode_16_64 0
		.amdhsa_float_denorm_mode_32 3
		.amdhsa_float_denorm_mode_16_64 3
		.amdhsa_dx10_clamp 1
		.amdhsa_ieee_mode 1
		.amdhsa_fp16_overflow 0
		.amdhsa_workgroup_processor_mode 1
		.amdhsa_memory_ordered 1
		.amdhsa_forward_progress 0
		.amdhsa_shared_vgpr_count 0
		.amdhsa_exception_fp_ieee_invalid_op 0
		.amdhsa_exception_fp_denorm_src 0
		.amdhsa_exception_fp_ieee_div_zero 0
		.amdhsa_exception_fp_ieee_overflow 0
		.amdhsa_exception_fp_ieee_underflow 0
		.amdhsa_exception_fp_ieee_inexact 0
		.amdhsa_exception_int_div_zero 0
	.end_amdhsa_kernel
	.section	.text._ZL19k_bin_bcast_unravelIXadL_ZL6op_addffEE6__halffS0_JPKfS2_S2_S2_S2_S2_S2_EEvPKT0_PKT1_PT2_15HIP_vector_typeIjLj3EESC_SC_jSC_SC_SC_SC_SC_SC_iiiiiiiiiiiDpT3_,"axG",@progbits,_ZL19k_bin_bcast_unravelIXadL_ZL6op_addffEE6__halffS0_JPKfS2_S2_S2_S2_S2_S2_EEvPKT0_PKT1_PT2_15HIP_vector_typeIjLj3EESC_SC_jSC_SC_SC_SC_SC_SC_iiiiiiiiiiiDpT3_,comdat
.Lfunc_end84:
	.size	_ZL19k_bin_bcast_unravelIXadL_ZL6op_addffEE6__halffS0_JPKfS2_S2_S2_S2_S2_S2_EEvPKT0_PKT1_PT2_15HIP_vector_typeIjLj3EESC_SC_jSC_SC_SC_SC_SC_SC_iiiiiiiiiiiDpT3_, .Lfunc_end84-_ZL19k_bin_bcast_unravelIXadL_ZL6op_addffEE6__halffS0_JPKfS2_S2_S2_S2_S2_S2_EEvPKT0_PKT1_PT2_15HIP_vector_typeIjLj3EESC_SC_jSC_SC_SC_SC_SC_SC_iiiiiiiiiiiDpT3_
                                        ; -- End function
	.section	.AMDGPU.csdata,"",@progbits
; Kernel info:
; codeLenInByte = 1024
; NumSgprs: 30
; NumVgprs: 15
; ScratchSize: 0
; MemoryBound: 0
; FloatMode: 240
; IeeeMode: 1
; LDSByteSize: 0 bytes/workgroup (compile time only)
; SGPRBlocks: 3
; VGPRBlocks: 1
; NumSGPRsForWavesPerEU: 30
; NumVGPRsForWavesPerEU: 15
; Occupancy: 16
; WaveLimiterHint : 1
; COMPUTE_PGM_RSRC2:SCRATCH_EN: 0
; COMPUTE_PGM_RSRC2:USER_SGPR: 15
; COMPUTE_PGM_RSRC2:TRAP_HANDLER: 0
; COMPUTE_PGM_RSRC2:TGID_X_EN: 1
; COMPUTE_PGM_RSRC2:TGID_Y_EN: 0
; COMPUTE_PGM_RSRC2:TGID_Z_EN: 0
; COMPUTE_PGM_RSRC2:TIDIG_COMP_CNT: 0
	.section	.text._ZL11k_bin_bcastIXadL_ZL6op_addffEE6__halffS0_JPKfS2_S2_S2_S2_S2_S2_EEvPKT0_PKT1_PT2_iii15HIP_vector_typeIjLj3EESC_SC_SC_SC_iiiiiiiiiiiDpT3_,"axG",@progbits,_ZL11k_bin_bcastIXadL_ZL6op_addffEE6__halffS0_JPKfS2_S2_S2_S2_S2_S2_EEvPKT0_PKT1_PT2_iii15HIP_vector_typeIjLj3EESC_SC_SC_SC_iiiiiiiiiiiDpT3_,comdat
	.globl	_ZL11k_bin_bcastIXadL_ZL6op_addffEE6__halffS0_JPKfS2_S2_S2_S2_S2_S2_EEvPKT0_PKT1_PT2_iii15HIP_vector_typeIjLj3EESC_SC_SC_SC_iiiiiiiiiiiDpT3_ ; -- Begin function _ZL11k_bin_bcastIXadL_ZL6op_addffEE6__halffS0_JPKfS2_S2_S2_S2_S2_S2_EEvPKT0_PKT1_PT2_iii15HIP_vector_typeIjLj3EESC_SC_SC_SC_iiiiiiiiiiiDpT3_
	.p2align	8
	.type	_ZL11k_bin_bcastIXadL_ZL6op_addffEE6__halffS0_JPKfS2_S2_S2_S2_S2_S2_EEvPKT0_PKT1_PT2_iii15HIP_vector_typeIjLj3EESC_SC_SC_SC_iiiiiiiiiiiDpT3_,@function
_ZL11k_bin_bcastIXadL_ZL6op_addffEE6__halffS0_JPKfS2_S2_S2_S2_S2_S2_EEvPKT0_PKT1_PT2_iii15HIP_vector_typeIjLj3EESC_SC_SC_SC_iiiiiiiiiiiDpT3_: ; @_ZL11k_bin_bcastIXadL_ZL6op_addffEE6__halffS0_JPKfS2_S2_S2_S2_S2_S2_EEvPKT0_PKT1_PT2_iii15HIP_vector_typeIjLj3EESC_SC_SC_SC_iiiiiiiiiiiDpT3_
; %bb.0:
	s_clause 0x1
	s_load_b64 s[2:3], s[0:1], 0xd4
	s_load_b256 s[16:23], s[0:1], 0x18
	v_bfe_u32 v1, v0, 20, 10
	s_add_u32 s24, s0, 0xc8
	s_addc_u32 s25, s1, 0
	s_waitcnt lgkmcnt(0)
	s_and_b32 s3, s3, 0xffff
	s_delay_alu instid0(SALU_CYCLE_1) | instskip(SKIP_3) | instid1(VALU_DEP_3)
	v_mad_u64_u32 v[4:5], null, s15, s3, v[1:2]
	v_and_b32_e32 v2, 0x3ff, v0
	v_bfe_u32 v5, v0, 10, 10
	s_lshr_b32 s3, s2, 16
	v_mul_hi_u32 v1, v4, s19
	s_delay_alu instid0(VALU_DEP_1) | instskip(NEXT) | instid1(VALU_DEP_1)
	v_add_nc_u32_e32 v1, v4, v1
	v_lshrrev_b32_e32 v3, s20, v1
	s_and_b32 s20, s2, 0xffff
	s_delay_alu instid0(VALU_DEP_1) | instskip(SKIP_1) | instid1(VALU_DEP_2)
	v_mul_lo_u32 v6, v3, s21
	v_mad_u64_u32 v[0:1], null, s13, s20, v[2:3]
	v_mad_u64_u32 v[1:2], null, s14, s3, v[5:6]
	v_sub_nc_u32_e32 v4, v4, v6
	s_delay_alu instid0(VALU_DEP_3) | instskip(SKIP_1) | instid1(VALU_DEP_3)
	v_cmp_gt_u32_e32 vcc_lo, s16, v0
	v_cmp_gt_u32_e64 s3, s18, v3
	v_cmp_gt_u32_e64 s4, s21, v4
	;; [unrolled: 1-line block ×3, first 2 shown]
	s_delay_alu instid0(VALU_DEP_1)
	s_and_b32 s2, vcc_lo, s2
	s_delay_alu instid0(VALU_DEP_3) | instid1(SALU_CYCLE_1)
	s_and_b32 s2, s2, s3
	s_delay_alu instid0(VALU_DEP_2) | instid1(SALU_CYCLE_1)
	s_and_b32 s2, s2, s4
	s_delay_alu instid0(SALU_CYCLE_1)
	s_and_saveexec_b32 s3, s2
	s_cbranch_execz .LBB85_6
; %bb.1:
	v_cmp_gt_i32_e32 vcc_lo, s16, v0
	s_and_b32 exec_lo, exec_lo, vcc_lo
	s_cbranch_execz .LBB85_6
; %bb.2:
	s_clause 0x2
	s_load_b256 s[36:43], s[0:1], 0x3c
	s_load_b256 s[4:11], s[0:1], 0x60
	s_load_b128 s[12:15], s[0:1], 0x80
	s_waitcnt lgkmcnt(0)
	s_load_b32 s15, s[24:25], 0x0
	s_clause 0x4
	s_load_b32 s17, s[0:1], 0x5c
	s_load_b64 s[18:19], s[0:1], 0x0
	s_load_b32 s21, s[0:1], 0x38
	s_load_b64 s[2:3], s[0:1], 0x10
	s_load_b256 s[24:31], s[0:1], 0xb0
	v_mul_hi_u32 v2, s36, v1
	v_mul_hi_u32 v5, s39, v3
	v_mul_hi_u32 v7, s42, v4
	v_mul_lo_u32 v9, v4, s10
	v_mul_lo_u32 v10, v3, s9
	;; [unrolled: 1-line block ×3, first 2 shown]
	v_mov_b32_e32 v6, 0
	v_mul_lo_u32 v12, v4, s6
	v_add_nc_u32_e32 v2, v1, v2
	v_add_nc_u32_e32 v5, v3, v5
	s_delay_alu instid0(VALU_DEP_4) | instskip(SKIP_1) | instid1(VALU_DEP_4)
	v_dual_mov_b32 v8, v6 :: v_dual_add_nc_u32 v7, v4, v7
	v_mul_lo_u32 v13, v3, s5
	v_lshrrev_b32_e32 v2, s37, v2
	s_delay_alu instid0(VALU_DEP_4) | instskip(NEXT) | instid1(VALU_DEP_4)
	v_lshrrev_b32_e32 v15, s40, v5
	v_lshrrev_b32_e32 v16, s43, v7
	v_add3_u32 v5, v10, v11, v9
	v_mul_lo_u32 v14, v1, s4
	v_mul_lo_u32 v9, v2, s38
	;; [unrolled: 1-line block ×3, first 2 shown]
	s_waitcnt lgkmcnt(0)
	v_mul_lo_u32 v11, v16, s17
	v_lshlrev_b64 v[5:6], 1, v[5:6]
	s_load_b256 s[36:43], s[0:1], 0x90
	s_cmp_lg_u64 s[18:19], 0
	v_mul_lo_u32 v2, s7, v0
	v_add3_u32 v7, v13, v14, v12
	v_sub_nc_u32_e32 v1, v1, v9
	v_sub_nc_u32_e32 v3, v3, v10
	;; [unrolled: 1-line block ×3, first 2 shown]
	v_add_co_u32 v9, vcc_lo, s18, v5
	v_add_co_ci_u32_e32 v5, vcc_lo, s19, v6, vcc_lo
	v_lshlrev_b64 v[7:8], 1, v[7:8]
	s_delay_alu instid0(VALU_DEP_4)
	v_mul_lo_u32 v10, v4, s14
	v_mul_lo_u32 v3, v3, s13
	;; [unrolled: 1-line block ×3, first 2 shown]
	s_cselect_b32 vcc_lo, -1, 0
	s_sub_i32 s5, 0, s21
	v_cndmask_b32_e32 v5, 0, v5, vcc_lo
	v_cndmask_b32_e32 v4, 0, v9, vcc_lo
	v_add_co_u32 v6, vcc_lo, s2, v7
	v_add_co_ci_u32_e32 v7, vcc_lo, s3, v8, vcc_lo
	s_delay_alu instid0(VALU_DEP_3)
	v_cmp_ne_u64_e32 vcc_lo, 0, v[4:5]
	v_add3_u32 v8, v3, v10, v1
	s_mul_i32 s2, s15, s20
	s_mov_b32 s3, 0
	s_mul_i32 s4, s2, s7
	s_branch .LBB85_4
.LBB85_3:                               ;   in Loop: Header=BB85_4 Depth=1
	s_or_b32 exec_lo, exec_lo, s1
	v_mul_hi_u32 v3, s22, v0
	v_add_nc_u32_e32 v2, s4, v2
	s_delay_alu instid0(VALU_DEP_2) | instskip(NEXT) | instid1(VALU_DEP_1)
	v_add_nc_u32_e32 v3, v0, v3
	v_lshrrev_b32_e32 v3, s23, v3
	s_delay_alu instid0(VALU_DEP_1) | instskip(NEXT) | instid1(VALU_DEP_1)
	v_mad_u64_u32 v[9:10], null, s5, v3, v[0:1]
	v_mul_lo_u32 v3, v9, s11
	s_delay_alu instid0(VALU_DEP_1) | instskip(NEXT) | instid1(VALU_DEP_1)
	v_add_co_u32 v9, s0, v3, v8
	v_add_co_ci_u32_e64 v10, null, 0, 0, s0
	s_delay_alu instid0(VALU_DEP_1) | instskip(SKIP_1) | instid1(VALU_DEP_1)
	v_lshlrev_b64 v[9:10], 2, v[9:10]
	s_waitcnt lgkmcnt(0)
	v_add_co_u32 v11, s0, s36, v9
	s_delay_alu instid0(VALU_DEP_1) | instskip(SKIP_1) | instid1(VALU_DEP_1)
	v_add_co_ci_u32_e64 v12, s0, s37, v10, s0
	v_add_co_u32 v13, s0, s38, v9
	v_add_co_ci_u32_e64 v14, s0, s39, v10, s0
	global_load_b32 v3, v[11:12], off
	v_add_co_u32 v11, s0, s40, v9
	s_delay_alu instid0(VALU_DEP_1) | instskip(SKIP_2) | instid1(VALU_DEP_1)
	v_add_co_ci_u32_e64 v12, s0, s41, v10, s0
	global_load_b32 v15, v[13:14], off
	v_add_co_u32 v13, s0, s42, v9
	v_add_co_ci_u32_e64 v14, s0, s43, v10, s0
	global_load_b32 v16, v[11:12], off
	v_add_co_u32 v11, s0, s24, v9
	s_delay_alu instid0(VALU_DEP_1) | instskip(SKIP_2) | instid1(VALU_DEP_1)
	v_add_co_ci_u32_e64 v12, s0, s25, v10, s0
	global_load_b32 v17, v[13:14], off
	v_add_co_u32 v13, s0, s26, v9
	v_add_co_ci_u32_e64 v14, s0, s27, v10, s0
	global_load_b32 v11, v[11:12], off
	v_add_co_u32 v9, s0, s28, v9
	s_delay_alu instid0(VALU_DEP_1)
	v_add_co_ci_u32_e64 v10, s0, s29, v10, s0
	global_load_b32 v12, v[13:14], off
	global_load_b32 v13, v[9:10], off
	s_waitcnt vmcnt(6)
	v_add_f32_e32 v1, v1, v3
	s_waitcnt vmcnt(5)
	s_delay_alu instid0(VALU_DEP_1) | instskip(SKIP_1) | instid1(VALU_DEP_1)
	v_add_f32_e32 v1, v1, v15
	s_waitcnt vmcnt(4)
	v_add_f32_e32 v1, v1, v16
	s_waitcnt vmcnt(3)
	s_delay_alu instid0(VALU_DEP_1) | instskip(SKIP_1) | instid1(VALU_DEP_1)
	v_add_f32_e32 v1, v1, v17
	s_waitcnt vmcnt(2)
	v_add_f32_e32 v3, v1, v11
	v_ashrrev_i32_e32 v1, 31, v0
	s_waitcnt vmcnt(1)
	s_delay_alu instid0(VALU_DEP_2) | instskip(NEXT) | instid1(VALU_DEP_2)
	v_add_f32_e32 v3, v3, v12
	v_lshlrev_b64 v[9:10], 1, v[0:1]
	s_waitcnt vmcnt(0)
	s_delay_alu instid0(VALU_DEP_2) | instskip(NEXT) | instid1(VALU_DEP_1)
	v_dual_add_f32 v1, v3, v13 :: v_dual_add_nc_u32 v0, s2, v0
	v_cmp_le_i32_e64 s0, s16, v0
	s_delay_alu instid0(VALU_DEP_3) | instskip(NEXT) | instid1(VALU_DEP_3)
	v_add_co_u32 v9, s1, v6, v9
	v_cvt_f16_f32_e32 v1, v1
	v_add_co_ci_u32_e64 v10, s1, v7, v10, s1
	s_delay_alu instid0(VALU_DEP_4)
	s_or_b32 s3, s0, s3
	global_store_b16 v[9:10], v1, off
	s_and_not1_b32 exec_lo, exec_lo, s3
	s_cbranch_execz .LBB85_6
.LBB85_4:                               ; =>This Inner Loop Header: Depth=1
	v_mov_b32_e32 v1, 0
	s_and_saveexec_b32 s1, vcc_lo
	s_cbranch_execz .LBB85_3
; %bb.5:                                ;   in Loop: Header=BB85_4 Depth=1
	v_ashrrev_i32_e32 v3, 31, v2
	s_delay_alu instid0(VALU_DEP_1) | instskip(NEXT) | instid1(VALU_DEP_1)
	v_lshlrev_b64 v[9:10], 1, v[2:3]
	v_add_co_u32 v9, s0, v4, v9
	s_delay_alu instid0(VALU_DEP_1)
	v_add_co_ci_u32_e64 v10, s0, v5, v10, s0
	global_load_u16 v1, v[9:10], off
	s_waitcnt vmcnt(0)
	v_cvt_f32_f16_e32 v1, v1
	s_branch .LBB85_3
.LBB85_6:
	s_nop 0
	s_sendmsg sendmsg(MSG_DEALLOC_VGPRS)
	s_endpgm
	.section	.rodata,"a",@progbits
	.p2align	6, 0x0
	.amdhsa_kernel _ZL11k_bin_bcastIXadL_ZL6op_addffEE6__halffS0_JPKfS2_S2_S2_S2_S2_S2_EEvPKT0_PKT1_PT2_iii15HIP_vector_typeIjLj3EESC_SC_SC_SC_iiiiiiiiiiiDpT3_
		.amdhsa_group_segment_fixed_size 0
		.amdhsa_private_segment_fixed_size 0
		.amdhsa_kernarg_size 456
		.amdhsa_user_sgpr_count 13
		.amdhsa_user_sgpr_dispatch_ptr 0
		.amdhsa_user_sgpr_queue_ptr 0
		.amdhsa_user_sgpr_kernarg_segment_ptr 1
		.amdhsa_user_sgpr_dispatch_id 0
		.amdhsa_user_sgpr_private_segment_size 0
		.amdhsa_wavefront_size32 1
		.amdhsa_uses_dynamic_stack 0
		.amdhsa_enable_private_segment 0
		.amdhsa_system_sgpr_workgroup_id_x 1
		.amdhsa_system_sgpr_workgroup_id_y 1
		.amdhsa_system_sgpr_workgroup_id_z 1
		.amdhsa_system_sgpr_workgroup_info 0
		.amdhsa_system_vgpr_workitem_id 2
		.amdhsa_next_free_vgpr 18
		.amdhsa_next_free_sgpr 44
		.amdhsa_reserve_vcc 1
		.amdhsa_float_round_mode_32 0
		.amdhsa_float_round_mode_16_64 0
		.amdhsa_float_denorm_mode_32 3
		.amdhsa_float_denorm_mode_16_64 3
		.amdhsa_dx10_clamp 1
		.amdhsa_ieee_mode 1
		.amdhsa_fp16_overflow 0
		.amdhsa_workgroup_processor_mode 1
		.amdhsa_memory_ordered 1
		.amdhsa_forward_progress 0
		.amdhsa_shared_vgpr_count 0
		.amdhsa_exception_fp_ieee_invalid_op 0
		.amdhsa_exception_fp_denorm_src 0
		.amdhsa_exception_fp_ieee_div_zero 0
		.amdhsa_exception_fp_ieee_overflow 0
		.amdhsa_exception_fp_ieee_underflow 0
		.amdhsa_exception_fp_ieee_inexact 0
		.amdhsa_exception_int_div_zero 0
	.end_amdhsa_kernel
	.section	.text._ZL11k_bin_bcastIXadL_ZL6op_addffEE6__halffS0_JPKfS2_S2_S2_S2_S2_S2_EEvPKT0_PKT1_PT2_iii15HIP_vector_typeIjLj3EESC_SC_SC_SC_iiiiiiiiiiiDpT3_,"axG",@progbits,_ZL11k_bin_bcastIXadL_ZL6op_addffEE6__halffS0_JPKfS2_S2_S2_S2_S2_S2_EEvPKT0_PKT1_PT2_iii15HIP_vector_typeIjLj3EESC_SC_SC_SC_iiiiiiiiiiiDpT3_,comdat
.Lfunc_end85:
	.size	_ZL11k_bin_bcastIXadL_ZL6op_addffEE6__halffS0_JPKfS2_S2_S2_S2_S2_S2_EEvPKT0_PKT1_PT2_iii15HIP_vector_typeIjLj3EESC_SC_SC_SC_iiiiiiiiiiiDpT3_, .Lfunc_end85-_ZL11k_bin_bcastIXadL_ZL6op_addffEE6__halffS0_JPKfS2_S2_S2_S2_S2_S2_EEvPKT0_PKT1_PT2_iii15HIP_vector_typeIjLj3EESC_SC_SC_SC_iiiiiiiiiiiDpT3_
                                        ; -- End function
	.section	.AMDGPU.csdata,"",@progbits
; Kernel info:
; codeLenInByte = 1104
; NumSgprs: 46
; NumVgprs: 18
; ScratchSize: 0
; MemoryBound: 0
; FloatMode: 240
; IeeeMode: 1
; LDSByteSize: 0 bytes/workgroup (compile time only)
; SGPRBlocks: 5
; VGPRBlocks: 2
; NumSGPRsForWavesPerEU: 46
; NumVGPRsForWavesPerEU: 18
; Occupancy: 16
; WaveLimiterHint : 1
; COMPUTE_PGM_RSRC2:SCRATCH_EN: 0
; COMPUTE_PGM_RSRC2:USER_SGPR: 13
; COMPUTE_PGM_RSRC2:TRAP_HANDLER: 0
; COMPUTE_PGM_RSRC2:TGID_X_EN: 1
; COMPUTE_PGM_RSRC2:TGID_Y_EN: 1
; COMPUTE_PGM_RSRC2:TGID_Z_EN: 1
; COMPUTE_PGM_RSRC2:TIDIG_COMP_CNT: 2
	.section	.text._ZL19k_bin_bcast_unravelIXadL_ZL6op_addffEE6__halfffJPKfS2_S2_S2_S2_S2_S2_EEvPKT0_PKT1_PT2_15HIP_vector_typeIjLj3EESC_SC_jSC_SC_SC_SC_SC_SC_iiiiiiiiiiiDpT3_,"axG",@progbits,_ZL19k_bin_bcast_unravelIXadL_ZL6op_addffEE6__halfffJPKfS2_S2_S2_S2_S2_S2_EEvPKT0_PKT1_PT2_15HIP_vector_typeIjLj3EESC_SC_jSC_SC_SC_SC_SC_SC_iiiiiiiiiiiDpT3_,comdat
	.globl	_ZL19k_bin_bcast_unravelIXadL_ZL6op_addffEE6__halfffJPKfS2_S2_S2_S2_S2_S2_EEvPKT0_PKT1_PT2_15HIP_vector_typeIjLj3EESC_SC_jSC_SC_SC_SC_SC_SC_iiiiiiiiiiiDpT3_ ; -- Begin function _ZL19k_bin_bcast_unravelIXadL_ZL6op_addffEE6__halfffJPKfS2_S2_S2_S2_S2_S2_EEvPKT0_PKT1_PT2_15HIP_vector_typeIjLj3EESC_SC_jSC_SC_SC_SC_SC_SC_iiiiiiiiiiiDpT3_
	.p2align	8
	.type	_ZL19k_bin_bcast_unravelIXadL_ZL6op_addffEE6__halfffJPKfS2_S2_S2_S2_S2_S2_EEvPKT0_PKT1_PT2_15HIP_vector_typeIjLj3EESC_SC_jSC_SC_SC_SC_SC_SC_iiiiiiiiiiiDpT3_,@function
_ZL19k_bin_bcast_unravelIXadL_ZL6op_addffEE6__halfffJPKfS2_S2_S2_S2_S2_S2_EEvPKT0_PKT1_PT2_15HIP_vector_typeIjLj3EESC_SC_jSC_SC_SC_SC_SC_SC_iiiiiiiiiiiDpT3_: ; @_ZL19k_bin_bcast_unravelIXadL_ZL6op_addffEE6__halfffJPKfS2_S2_S2_S2_S2_S2_EEvPKT0_PKT1_PT2_15HIP_vector_typeIjLj3EESC_SC_jSC_SC_SC_SC_SC_SC_iiiiiiiiiiiDpT3_
; %bb.0:
	s_clause 0x1
	s_load_b32 s2, s[0:1], 0xfc
	s_load_b256 s[4:11], s[0:1], 0x38
	s_waitcnt lgkmcnt(0)
	s_and_b32 s2, s2, 0xffff
	s_delay_alu instid0(SALU_CYCLE_1) | instskip(SKIP_3) | instid1(VALU_DEP_1)
	v_mad_u64_u32 v[2:3], null, s15, s2, v[0:1]
	s_clause 0x1
	s_load_b128 s[12:15], s[0:1], 0x18
	s_load_b32 s2, s[0:1], 0x2c
	v_mul_hi_u32 v0, v2, s6
	s_delay_alu instid0(VALU_DEP_1) | instskip(NEXT) | instid1(VALU_DEP_1)
	v_add_nc_u32_e32 v0, v2, v0
	v_lshrrev_b32_e32 v1, s7, v0
	s_delay_alu instid0(VALU_DEP_1) | instskip(NEXT) | instid1(VALU_DEP_1)
	v_mul_lo_u32 v0, v1, s8
	v_sub_nc_u32_e32 v0, v2, v0
	s_delay_alu instid0(VALU_DEP_1) | instskip(NEXT) | instid1(VALU_DEP_1)
	v_mul_hi_u32 v2, v0, s9
	v_add_nc_u32_e32 v2, v0, v2
	s_delay_alu instid0(VALU_DEP_1) | instskip(NEXT) | instid1(VALU_DEP_1)
	v_lshrrev_b32_e32 v2, s10, v2
	v_mul_lo_u32 v3, v2, s11
	v_cmp_gt_u32_e64 s3, s4, v2
	v_cmp_gt_u32_e64 s4, s5, v1
	s_delay_alu instid0(VALU_DEP_3) | instskip(SKIP_1) | instid1(VALU_DEP_1)
	v_sub_nc_u32_e32 v0, v0, v3
	s_waitcnt lgkmcnt(0)
	v_mul_hi_u32 v3, v0, s12
	s_delay_alu instid0(VALU_DEP_1) | instskip(NEXT) | instid1(VALU_DEP_1)
	v_add_nc_u32_e32 v3, v0, v3
	v_lshrrev_b32_e32 v3, s13, v3
	s_delay_alu instid0(VALU_DEP_1) | instskip(SKIP_1) | instid1(VALU_DEP_2)
	v_mul_lo_u32 v4, v3, s14
	v_cmp_gt_u32_e64 s2, s2, v3
	v_sub_nc_u32_e32 v0, v0, v4
	s_delay_alu instid0(VALU_DEP_1) | instskip(NEXT) | instid1(VALU_DEP_3)
	v_cmp_gt_u32_e32 vcc_lo, s14, v0
	s_and_b32 s2, vcc_lo, s2
	s_delay_alu instid0(SALU_CYCLE_1) | instskip(NEXT) | instid1(SALU_CYCLE_1)
	s_and_b32 s2, s2, s3
	s_and_b32 s2, s4, s2
	s_delay_alu instid0(SALU_CYCLE_1)
	s_and_saveexec_b32 s3, s2
	s_cbranch_execz .LBB86_5
; %bb.1:
	s_clause 0x4
	s_load_b64 s[2:3], s[0:1], 0x0
	s_load_b128 s[20:23], s[0:1], 0xa8
	s_load_b256 s[4:11], s[0:1], 0x88
	s_load_b128 s[24:27], s[0:1], 0x78
	s_load_b256 s[12:19], s[0:1], 0x58
	s_waitcnt lgkmcnt(0)
	s_cmp_eq_u64 s[2:3], 0
	s_cbranch_scc1 .LBB86_3
; %bb.2:
	v_mul_lo_u32 v4, v1, s10
	v_mul_lo_u32 v6, v2, s9
	;; [unrolled: 1-line block ×3, first 2 shown]
	v_mov_b32_e32 v5, 0
	s_delay_alu instid0(VALU_DEP_2) | instskip(NEXT) | instid1(VALU_DEP_1)
	v_add3_u32 v4, v6, v4, v7
	v_lshlrev_b64 v[6:7], 1, v[4:5]
	v_mul_lo_u32 v4, v0, s7
	s_delay_alu instid0(VALU_DEP_2) | instskip(NEXT) | instid1(VALU_DEP_3)
	v_add_co_u32 v6, vcc_lo, s2, v6
	v_add_co_ci_u32_e32 v7, vcc_lo, s3, v7, vcc_lo
	s_delay_alu instid0(VALU_DEP_3) | instskip(NEXT) | instid1(VALU_DEP_1)
	v_lshlrev_b64 v[4:5], 1, v[4:5]
	v_add_co_u32 v4, vcc_lo, v6, v4
	s_delay_alu instid0(VALU_DEP_2)
	v_add_co_ci_u32_e32 v5, vcc_lo, v7, v5, vcc_lo
	global_load_u16 v4, v[4:5], off
	s_waitcnt vmcnt(0)
	v_cvt_f32_f16_e32 v4, v4
	s_branch .LBB86_4
.LBB86_3:
	v_mov_b32_e32 v4, 0
.LBB86_4:
	v_mul_hi_u32 v5, s25, v1
	v_mul_hi_u32 v6, s18, v2
	;; [unrolled: 1-line block ×4, first 2 shown]
	s_delay_alu instid0(VALU_DEP_4) | instskip(NEXT) | instid1(VALU_DEP_4)
	v_add_nc_u32_e32 v5, v1, v5
	v_add_nc_u32_e32 v6, v2, v6
	s_delay_alu instid0(VALU_DEP_4) | instskip(NEXT) | instid1(VALU_DEP_4)
	v_add_nc_u32_e32 v7, v3, v7
	v_add_nc_u32_e32 v8, v0, v8
	s_delay_alu instid0(VALU_DEP_4) | instskip(NEXT) | instid1(VALU_DEP_4)
	v_lshrrev_b32_e32 v5, s26, v5
	v_lshrrev_b32_e32 v6, s19, v6
	s_delay_alu instid0(VALU_DEP_4) | instskip(NEXT) | instid1(VALU_DEP_4)
	v_lshrrev_b32_e32 v7, s16, v7
	v_lshrrev_b32_e32 v8, s13, v8
	s_delay_alu instid0(VALU_DEP_4) | instskip(NEXT) | instid1(VALU_DEP_4)
	v_mul_lo_u32 v5, v5, s27
	v_mul_lo_u32 v6, v6, s24
	s_delay_alu instid0(VALU_DEP_4) | instskip(NEXT) | instid1(VALU_DEP_4)
	v_mul_lo_u32 v7, v7, s17
	v_mul_lo_u32 v8, v8, s14
	s_clause 0x1
	s_load_b64 s[2:3], s[0:1], 0xe8
	s_load_b128 s[16:19], s[0:1], 0xd8
	s_delay_alu instid0(VALU_DEP_4) | instskip(NEXT) | instid1(VALU_DEP_4)
	v_sub_nc_u32_e32 v5, v1, v5
	v_sub_nc_u32_e32 v6, v2, v6
	s_delay_alu instid0(VALU_DEP_4) | instskip(NEXT) | instid1(VALU_DEP_4)
	v_sub_nc_u32_e32 v7, v3, v7
	v_sub_nc_u32_e32 v8, v0, v8
	v_mul_lo_u32 v1, v1, s6
	v_mul_lo_u32 v5, v5, s22
	;; [unrolled: 1-line block ×5, first 2 shown]
	s_clause 0x1
	s_load_b256 s[8:15], s[0:1], 0xb8
	s_load_b64 s[0:1], s[0:1], 0x10
	v_mul_lo_u32 v2, v2, s5
	s_delay_alu instid0(VALU_DEP_3) | instskip(NEXT) | instid1(VALU_DEP_3)
	v_add3_u32 v5, v6, v5, v7
	v_ashrrev_i32_e32 v6, 31, v8
	s_delay_alu instid0(VALU_DEP_2) | instskip(SKIP_1) | instid1(VALU_DEP_2)
	v_ashrrev_i32_e32 v7, 31, v5
	v_add_co_u32 v5, vcc_lo, v8, v5
	v_add_co_ci_u32_e32 v6, vcc_lo, v6, v7, vcc_lo
	s_delay_alu instid0(VALU_DEP_1) | instskip(SKIP_1) | instid1(VALU_DEP_1)
	v_lshlrev_b64 v[5:6], 2, v[5:6]
	s_waitcnt lgkmcnt(0)
	v_add_co_u32 v7, vcc_lo, s8, v5
	s_delay_alu instid0(VALU_DEP_2)
	v_add_co_ci_u32_e32 v8, vcc_lo, s9, v6, vcc_lo
	v_add_co_u32 v9, vcc_lo, s10, v5
	v_add_co_ci_u32_e32 v10, vcc_lo, s11, v6, vcc_lo
	global_load_b32 v11, v[7:8], off
	v_add_co_u32 v7, vcc_lo, s12, v5
	v_add_co_ci_u32_e32 v8, vcc_lo, s13, v6, vcc_lo
	global_load_b32 v12, v[9:10], off
	;; [unrolled: 3-line block ×6, first 2 shown]
	global_load_b32 v5, v[5:6], off
	v_mul_lo_u32 v6, v3, s4
	v_mov_b32_e32 v3, 0
	s_delay_alu instid0(VALU_DEP_2) | instskip(NEXT) | instid1(VALU_DEP_2)
	v_add3_u32 v2, v2, v1, v6
	v_mov_b32_e32 v1, v3
	s_delay_alu instid0(VALU_DEP_2) | instskip(NEXT) | instid1(VALU_DEP_2)
	v_lshlrev_b64 v[2:3], 2, v[2:3]
	v_lshlrev_b64 v[0:1], 2, v[0:1]
	s_delay_alu instid0(VALU_DEP_2) | instskip(NEXT) | instid1(VALU_DEP_3)
	v_add_co_u32 v2, vcc_lo, s0, v2
	v_add_co_ci_u32_e32 v3, vcc_lo, s1, v3, vcc_lo
	s_delay_alu instid0(VALU_DEP_2) | instskip(NEXT) | instid1(VALU_DEP_2)
	v_add_co_u32 v0, vcc_lo, v2, v0
	v_add_co_ci_u32_e32 v1, vcc_lo, v3, v1, vcc_lo
	s_waitcnt vmcnt(6)
	v_add_f32_e32 v4, v4, v11
	s_waitcnt vmcnt(5)
	s_delay_alu instid0(VALU_DEP_1) | instskip(SKIP_1) | instid1(VALU_DEP_1)
	v_add_f32_e32 v4, v4, v12
	s_waitcnt vmcnt(4)
	v_add_f32_e32 v4, v4, v13
	s_waitcnt vmcnt(3)
	s_delay_alu instid0(VALU_DEP_1) | instskip(SKIP_1) | instid1(VALU_DEP_1)
	v_add_f32_e32 v4, v4, v14
	;; [unrolled: 5-line block ×3, first 2 shown]
	s_waitcnt vmcnt(0)
	v_add_f32_e32 v4, v4, v5
	global_store_b32 v[0:1], v4, off
.LBB86_5:
	s_nop 0
	s_sendmsg sendmsg(MSG_DEALLOC_VGPRS)
	s_endpgm
	.section	.rodata,"a",@progbits
	.p2align	6, 0x0
	.amdhsa_kernel _ZL19k_bin_bcast_unravelIXadL_ZL6op_addffEE6__halfffJPKfS2_S2_S2_S2_S2_S2_EEvPKT0_PKT1_PT2_15HIP_vector_typeIjLj3EESC_SC_jSC_SC_SC_SC_SC_SC_iiiiiiiiiiiDpT3_
		.amdhsa_group_segment_fixed_size 0
		.amdhsa_private_segment_fixed_size 0
		.amdhsa_kernarg_size 496
		.amdhsa_user_sgpr_count 15
		.amdhsa_user_sgpr_dispatch_ptr 0
		.amdhsa_user_sgpr_queue_ptr 0
		.amdhsa_user_sgpr_kernarg_segment_ptr 1
		.amdhsa_user_sgpr_dispatch_id 0
		.amdhsa_user_sgpr_private_segment_size 0
		.amdhsa_wavefront_size32 1
		.amdhsa_uses_dynamic_stack 0
		.amdhsa_enable_private_segment 0
		.amdhsa_system_sgpr_workgroup_id_x 1
		.amdhsa_system_sgpr_workgroup_id_y 0
		.amdhsa_system_sgpr_workgroup_id_z 0
		.amdhsa_system_sgpr_workgroup_info 0
		.amdhsa_system_vgpr_workitem_id 0
		.amdhsa_next_free_vgpr 15
		.amdhsa_next_free_sgpr 28
		.amdhsa_reserve_vcc 1
		.amdhsa_float_round_mode_32 0
		.amdhsa_float_round_mode_16_64 0
		.amdhsa_float_denorm_mode_32 3
		.amdhsa_float_denorm_mode_16_64 3
		.amdhsa_dx10_clamp 1
		.amdhsa_ieee_mode 1
		.amdhsa_fp16_overflow 0
		.amdhsa_workgroup_processor_mode 1
		.amdhsa_memory_ordered 1
		.amdhsa_forward_progress 0
		.amdhsa_shared_vgpr_count 0
		.amdhsa_exception_fp_ieee_invalid_op 0
		.amdhsa_exception_fp_denorm_src 0
		.amdhsa_exception_fp_ieee_div_zero 0
		.amdhsa_exception_fp_ieee_overflow 0
		.amdhsa_exception_fp_ieee_underflow 0
		.amdhsa_exception_fp_ieee_inexact 0
		.amdhsa_exception_int_div_zero 0
	.end_amdhsa_kernel
	.section	.text._ZL19k_bin_bcast_unravelIXadL_ZL6op_addffEE6__halfffJPKfS2_S2_S2_S2_S2_S2_EEvPKT0_PKT1_PT2_15HIP_vector_typeIjLj3EESC_SC_jSC_SC_SC_SC_SC_SC_iiiiiiiiiiiDpT3_,"axG",@progbits,_ZL19k_bin_bcast_unravelIXadL_ZL6op_addffEE6__halfffJPKfS2_S2_S2_S2_S2_S2_EEvPKT0_PKT1_PT2_15HIP_vector_typeIjLj3EESC_SC_jSC_SC_SC_SC_SC_SC_iiiiiiiiiiiDpT3_,comdat
.Lfunc_end86:
	.size	_ZL19k_bin_bcast_unravelIXadL_ZL6op_addffEE6__halfffJPKfS2_S2_S2_S2_S2_S2_EEvPKT0_PKT1_PT2_15HIP_vector_typeIjLj3EESC_SC_jSC_SC_SC_SC_SC_SC_iiiiiiiiiiiDpT3_, .Lfunc_end86-_ZL19k_bin_bcast_unravelIXadL_ZL6op_addffEE6__halfffJPKfS2_S2_S2_S2_S2_S2_EEvPKT0_PKT1_PT2_15HIP_vector_typeIjLj3EESC_SC_jSC_SC_SC_SC_SC_SC_iiiiiiiiiiiDpT3_
                                        ; -- End function
	.section	.AMDGPU.csdata,"",@progbits
; Kernel info:
; codeLenInByte = 1016
; NumSgprs: 30
; NumVgprs: 15
; ScratchSize: 0
; MemoryBound: 0
; FloatMode: 240
; IeeeMode: 1
; LDSByteSize: 0 bytes/workgroup (compile time only)
; SGPRBlocks: 3
; VGPRBlocks: 1
; NumSGPRsForWavesPerEU: 30
; NumVGPRsForWavesPerEU: 15
; Occupancy: 16
; WaveLimiterHint : 1
; COMPUTE_PGM_RSRC2:SCRATCH_EN: 0
; COMPUTE_PGM_RSRC2:USER_SGPR: 15
; COMPUTE_PGM_RSRC2:TRAP_HANDLER: 0
; COMPUTE_PGM_RSRC2:TGID_X_EN: 1
; COMPUTE_PGM_RSRC2:TGID_Y_EN: 0
; COMPUTE_PGM_RSRC2:TGID_Z_EN: 0
; COMPUTE_PGM_RSRC2:TIDIG_COMP_CNT: 0
	.section	.text._ZL11k_bin_bcastIXadL_ZL6op_addffEE6__halfffJPKfS2_S2_S2_S2_S2_S2_EEvPKT0_PKT1_PT2_iii15HIP_vector_typeIjLj3EESC_SC_SC_SC_iiiiiiiiiiiDpT3_,"axG",@progbits,_ZL11k_bin_bcastIXadL_ZL6op_addffEE6__halfffJPKfS2_S2_S2_S2_S2_S2_EEvPKT0_PKT1_PT2_iii15HIP_vector_typeIjLj3EESC_SC_SC_SC_iiiiiiiiiiiDpT3_,comdat
	.globl	_ZL11k_bin_bcastIXadL_ZL6op_addffEE6__halfffJPKfS2_S2_S2_S2_S2_S2_EEvPKT0_PKT1_PT2_iii15HIP_vector_typeIjLj3EESC_SC_SC_SC_iiiiiiiiiiiDpT3_ ; -- Begin function _ZL11k_bin_bcastIXadL_ZL6op_addffEE6__halfffJPKfS2_S2_S2_S2_S2_S2_EEvPKT0_PKT1_PT2_iii15HIP_vector_typeIjLj3EESC_SC_SC_SC_iiiiiiiiiiiDpT3_
	.p2align	8
	.type	_ZL11k_bin_bcastIXadL_ZL6op_addffEE6__halfffJPKfS2_S2_S2_S2_S2_S2_EEvPKT0_PKT1_PT2_iii15HIP_vector_typeIjLj3EESC_SC_SC_SC_iiiiiiiiiiiDpT3_,@function
_ZL11k_bin_bcastIXadL_ZL6op_addffEE6__halfffJPKfS2_S2_S2_S2_S2_S2_EEvPKT0_PKT1_PT2_iii15HIP_vector_typeIjLj3EESC_SC_SC_SC_iiiiiiiiiiiDpT3_: ; @_ZL11k_bin_bcastIXadL_ZL6op_addffEE6__halfffJPKfS2_S2_S2_S2_S2_S2_EEvPKT0_PKT1_PT2_iii15HIP_vector_typeIjLj3EESC_SC_SC_SC_iiiiiiiiiiiDpT3_
; %bb.0:
	s_clause 0x1
	s_load_b64 s[2:3], s[0:1], 0xd4
	s_load_b256 s[16:23], s[0:1], 0x18
	v_bfe_u32 v1, v0, 20, 10
	s_add_u32 s24, s0, 0xc8
	s_addc_u32 s25, s1, 0
	s_waitcnt lgkmcnt(0)
	s_and_b32 s3, s3, 0xffff
	s_delay_alu instid0(SALU_CYCLE_1) | instskip(SKIP_3) | instid1(VALU_DEP_3)
	v_mad_u64_u32 v[4:5], null, s15, s3, v[1:2]
	v_and_b32_e32 v2, 0x3ff, v0
	v_bfe_u32 v5, v0, 10, 10
	s_lshr_b32 s3, s2, 16
	v_mul_hi_u32 v1, v4, s19
	s_delay_alu instid0(VALU_DEP_1) | instskip(NEXT) | instid1(VALU_DEP_1)
	v_add_nc_u32_e32 v1, v4, v1
	v_lshrrev_b32_e32 v3, s20, v1
	s_and_b32 s20, s2, 0xffff
	s_delay_alu instid0(VALU_DEP_1) | instskip(SKIP_1) | instid1(VALU_DEP_2)
	v_mul_lo_u32 v6, v3, s21
	v_mad_u64_u32 v[0:1], null, s13, s20, v[2:3]
	v_mad_u64_u32 v[1:2], null, s14, s3, v[5:6]
	v_sub_nc_u32_e32 v4, v4, v6
	s_delay_alu instid0(VALU_DEP_3) | instskip(SKIP_1) | instid1(VALU_DEP_3)
	v_cmp_gt_u32_e32 vcc_lo, s16, v0
	v_cmp_gt_u32_e64 s3, s18, v3
	v_cmp_gt_u32_e64 s4, s21, v4
	;; [unrolled: 1-line block ×3, first 2 shown]
	s_delay_alu instid0(VALU_DEP_1)
	s_and_b32 s2, vcc_lo, s2
	s_delay_alu instid0(VALU_DEP_3) | instid1(SALU_CYCLE_1)
	s_and_b32 s2, s2, s3
	s_delay_alu instid0(VALU_DEP_2) | instid1(SALU_CYCLE_1)
	s_and_b32 s2, s2, s4
	s_delay_alu instid0(SALU_CYCLE_1)
	s_and_saveexec_b32 s3, s2
	s_cbranch_execz .LBB87_6
; %bb.1:
	v_cmp_gt_i32_e32 vcc_lo, s16, v0
	s_and_b32 exec_lo, exec_lo, vcc_lo
	s_cbranch_execz .LBB87_6
; %bb.2:
	s_clause 0x2
	s_load_b256 s[36:43], s[0:1], 0x3c
	s_load_b256 s[4:11], s[0:1], 0x60
	s_load_b128 s[12:15], s[0:1], 0x80
	s_waitcnt lgkmcnt(0)
	s_load_b32 s15, s[24:25], 0x0
	s_clause 0x4
	s_load_b32 s17, s[0:1], 0x5c
	s_load_b64 s[18:19], s[0:1], 0x0
	s_load_b32 s21, s[0:1], 0x38
	s_load_b64 s[2:3], s[0:1], 0x10
	s_load_b256 s[24:31], s[0:1], 0xb0
	v_mul_hi_u32 v2, s36, v1
	v_mul_hi_u32 v5, s39, v3
	;; [unrolled: 1-line block ×3, first 2 shown]
	v_mul_lo_u32 v9, v4, s10
	v_mul_lo_u32 v10, v3, s9
	;; [unrolled: 1-line block ×3, first 2 shown]
	v_mov_b32_e32 v6, 0
	v_mul_lo_u32 v12, v4, s6
	v_add_nc_u32_e32 v2, v1, v2
	v_add_nc_u32_e32 v5, v3, v5
	s_delay_alu instid0(VALU_DEP_4) | instskip(SKIP_1) | instid1(VALU_DEP_4)
	v_dual_mov_b32 v8, v6 :: v_dual_add_nc_u32 v7, v4, v7
	v_mul_lo_u32 v13, v3, s5
	v_lshrrev_b32_e32 v2, s37, v2
	s_delay_alu instid0(VALU_DEP_4) | instskip(NEXT) | instid1(VALU_DEP_4)
	v_lshrrev_b32_e32 v15, s40, v5
	v_lshrrev_b32_e32 v16, s43, v7
	v_add3_u32 v5, v10, v11, v9
	v_mul_lo_u32 v14, v1, s4
	v_mul_lo_u32 v9, v2, s38
	;; [unrolled: 1-line block ×3, first 2 shown]
	s_waitcnt lgkmcnt(0)
	v_mul_lo_u32 v11, v16, s17
	v_lshlrev_b64 v[5:6], 1, v[5:6]
	s_load_b256 s[36:43], s[0:1], 0x90
	s_cmp_lg_u64 s[18:19], 0
	v_mul_lo_u32 v2, s7, v0
	v_add3_u32 v7, v13, v14, v12
	v_sub_nc_u32_e32 v1, v1, v9
	v_sub_nc_u32_e32 v3, v3, v10
	;; [unrolled: 1-line block ×3, first 2 shown]
	v_add_co_u32 v9, vcc_lo, s18, v5
	v_add_co_ci_u32_e32 v5, vcc_lo, s19, v6, vcc_lo
	v_lshlrev_b64 v[7:8], 2, v[7:8]
	s_delay_alu instid0(VALU_DEP_4)
	v_mul_lo_u32 v10, v4, s14
	v_mul_lo_u32 v3, v3, s13
	;; [unrolled: 1-line block ×3, first 2 shown]
	s_cselect_b32 vcc_lo, -1, 0
	s_sub_i32 s5, 0, s21
	v_cndmask_b32_e32 v5, 0, v5, vcc_lo
	v_cndmask_b32_e32 v4, 0, v9, vcc_lo
	v_add_co_u32 v6, vcc_lo, s2, v7
	v_add_co_ci_u32_e32 v7, vcc_lo, s3, v8, vcc_lo
	s_delay_alu instid0(VALU_DEP_3)
	v_cmp_ne_u64_e32 vcc_lo, 0, v[4:5]
	v_add3_u32 v8, v3, v10, v1
	s_mul_i32 s2, s15, s20
	s_mov_b32 s3, 0
	s_mul_i32 s4, s2, s7
	s_branch .LBB87_4
.LBB87_3:                               ;   in Loop: Header=BB87_4 Depth=1
	s_or_b32 exec_lo, exec_lo, s1
	v_mul_hi_u32 v3, s22, v0
	v_add_nc_u32_e32 v2, s4, v2
	s_delay_alu instid0(VALU_DEP_2) | instskip(NEXT) | instid1(VALU_DEP_1)
	v_add_nc_u32_e32 v3, v0, v3
	v_lshrrev_b32_e32 v3, s23, v3
	s_delay_alu instid0(VALU_DEP_1) | instskip(NEXT) | instid1(VALU_DEP_1)
	v_mad_u64_u32 v[9:10], null, s5, v3, v[0:1]
	v_mul_lo_u32 v3, v9, s11
	s_delay_alu instid0(VALU_DEP_1) | instskip(NEXT) | instid1(VALU_DEP_1)
	v_add_co_u32 v9, s0, v3, v8
	v_add_co_ci_u32_e64 v10, null, 0, 0, s0
	s_delay_alu instid0(VALU_DEP_1) | instskip(SKIP_1) | instid1(VALU_DEP_1)
	v_lshlrev_b64 v[9:10], 2, v[9:10]
	s_waitcnt lgkmcnt(0)
	v_add_co_u32 v11, s0, s36, v9
	s_delay_alu instid0(VALU_DEP_1) | instskip(SKIP_1) | instid1(VALU_DEP_1)
	v_add_co_ci_u32_e64 v12, s0, s37, v10, s0
	v_add_co_u32 v13, s0, s38, v9
	v_add_co_ci_u32_e64 v14, s0, s39, v10, s0
	global_load_b32 v3, v[11:12], off
	v_add_co_u32 v11, s0, s40, v9
	s_delay_alu instid0(VALU_DEP_1) | instskip(SKIP_2) | instid1(VALU_DEP_1)
	v_add_co_ci_u32_e64 v12, s0, s41, v10, s0
	global_load_b32 v15, v[13:14], off
	v_add_co_u32 v13, s0, s42, v9
	v_add_co_ci_u32_e64 v14, s0, s43, v10, s0
	global_load_b32 v16, v[11:12], off
	v_add_co_u32 v11, s0, s24, v9
	s_delay_alu instid0(VALU_DEP_1) | instskip(SKIP_2) | instid1(VALU_DEP_1)
	v_add_co_ci_u32_e64 v12, s0, s25, v10, s0
	global_load_b32 v17, v[13:14], off
	v_add_co_u32 v13, s0, s26, v9
	v_add_co_ci_u32_e64 v14, s0, s27, v10, s0
	global_load_b32 v11, v[11:12], off
	v_add_co_u32 v9, s0, s28, v9
	s_delay_alu instid0(VALU_DEP_1)
	v_add_co_ci_u32_e64 v10, s0, s29, v10, s0
	global_load_b32 v12, v[13:14], off
	global_load_b32 v13, v[9:10], off
	s_waitcnt vmcnt(6)
	v_add_f32_e32 v1, v1, v3
	s_waitcnt vmcnt(5)
	s_delay_alu instid0(VALU_DEP_1) | instskip(SKIP_1) | instid1(VALU_DEP_1)
	v_add_f32_e32 v1, v1, v15
	s_waitcnt vmcnt(4)
	v_add_f32_e32 v1, v1, v16
	s_waitcnt vmcnt(3)
	s_delay_alu instid0(VALU_DEP_1) | instskip(SKIP_2) | instid1(VALU_DEP_2)
	v_add_f32_e32 v3, v1, v17
	v_ashrrev_i32_e32 v1, 31, v0
	s_waitcnt vmcnt(2)
	v_add_f32_e32 v3, v3, v11
	s_delay_alu instid0(VALU_DEP_2) | instskip(SKIP_2) | instid1(VALU_DEP_3)
	v_lshlrev_b64 v[9:10], 2, v[0:1]
	v_add_nc_u32_e32 v0, s2, v0
	s_waitcnt vmcnt(1)
	v_add_f32_e32 v1, v3, v12
	s_delay_alu instid0(VALU_DEP_2) | instskip(NEXT) | instid1(VALU_DEP_4)
	v_cmp_le_i32_e64 s0, s16, v0
	v_add_co_u32 v9, s1, v6, v9
	s_delay_alu instid0(VALU_DEP_1)
	v_add_co_ci_u32_e64 v10, s1, v7, v10, s1
	s_waitcnt vmcnt(0)
	v_add_f32_e32 v1, v1, v13
	s_or_b32 s3, s0, s3
	global_store_b32 v[9:10], v1, off
	s_and_not1_b32 exec_lo, exec_lo, s3
	s_cbranch_execz .LBB87_6
.LBB87_4:                               ; =>This Inner Loop Header: Depth=1
	v_mov_b32_e32 v1, 0
	s_and_saveexec_b32 s1, vcc_lo
	s_cbranch_execz .LBB87_3
; %bb.5:                                ;   in Loop: Header=BB87_4 Depth=1
	v_ashrrev_i32_e32 v3, 31, v2
	s_delay_alu instid0(VALU_DEP_1) | instskip(NEXT) | instid1(VALU_DEP_1)
	v_lshlrev_b64 v[9:10], 1, v[2:3]
	v_add_co_u32 v9, s0, v4, v9
	s_delay_alu instid0(VALU_DEP_1)
	v_add_co_ci_u32_e64 v10, s0, v5, v10, s0
	global_load_u16 v1, v[9:10], off
	s_waitcnt vmcnt(0)
	v_cvt_f32_f16_e32 v1, v1
	s_branch .LBB87_3
.LBB87_6:
	s_nop 0
	s_sendmsg sendmsg(MSG_DEALLOC_VGPRS)
	s_endpgm
	.section	.rodata,"a",@progbits
	.p2align	6, 0x0
	.amdhsa_kernel _ZL11k_bin_bcastIXadL_ZL6op_addffEE6__halfffJPKfS2_S2_S2_S2_S2_S2_EEvPKT0_PKT1_PT2_iii15HIP_vector_typeIjLj3EESC_SC_SC_SC_iiiiiiiiiiiDpT3_
		.amdhsa_group_segment_fixed_size 0
		.amdhsa_private_segment_fixed_size 0
		.amdhsa_kernarg_size 456
		.amdhsa_user_sgpr_count 13
		.amdhsa_user_sgpr_dispatch_ptr 0
		.amdhsa_user_sgpr_queue_ptr 0
		.amdhsa_user_sgpr_kernarg_segment_ptr 1
		.amdhsa_user_sgpr_dispatch_id 0
		.amdhsa_user_sgpr_private_segment_size 0
		.amdhsa_wavefront_size32 1
		.amdhsa_uses_dynamic_stack 0
		.amdhsa_enable_private_segment 0
		.amdhsa_system_sgpr_workgroup_id_x 1
		.amdhsa_system_sgpr_workgroup_id_y 1
		.amdhsa_system_sgpr_workgroup_id_z 1
		.amdhsa_system_sgpr_workgroup_info 0
		.amdhsa_system_vgpr_workitem_id 2
		.amdhsa_next_free_vgpr 18
		.amdhsa_next_free_sgpr 44
		.amdhsa_reserve_vcc 1
		.amdhsa_float_round_mode_32 0
		.amdhsa_float_round_mode_16_64 0
		.amdhsa_float_denorm_mode_32 3
		.amdhsa_float_denorm_mode_16_64 3
		.amdhsa_dx10_clamp 1
		.amdhsa_ieee_mode 1
		.amdhsa_fp16_overflow 0
		.amdhsa_workgroup_processor_mode 1
		.amdhsa_memory_ordered 1
		.amdhsa_forward_progress 0
		.amdhsa_shared_vgpr_count 0
		.amdhsa_exception_fp_ieee_invalid_op 0
		.amdhsa_exception_fp_denorm_src 0
		.amdhsa_exception_fp_ieee_div_zero 0
		.amdhsa_exception_fp_ieee_overflow 0
		.amdhsa_exception_fp_ieee_underflow 0
		.amdhsa_exception_fp_ieee_inexact 0
		.amdhsa_exception_int_div_zero 0
	.end_amdhsa_kernel
	.section	.text._ZL11k_bin_bcastIXadL_ZL6op_addffEE6__halfffJPKfS2_S2_S2_S2_S2_S2_EEvPKT0_PKT1_PT2_iii15HIP_vector_typeIjLj3EESC_SC_SC_SC_iiiiiiiiiiiDpT3_,"axG",@progbits,_ZL11k_bin_bcastIXadL_ZL6op_addffEE6__halfffJPKfS2_S2_S2_S2_S2_S2_EEvPKT0_PKT1_PT2_iii15HIP_vector_typeIjLj3EESC_SC_SC_SC_iiiiiiiiiiiDpT3_,comdat
.Lfunc_end87:
	.size	_ZL11k_bin_bcastIXadL_ZL6op_addffEE6__halfffJPKfS2_S2_S2_S2_S2_S2_EEvPKT0_PKT1_PT2_iii15HIP_vector_typeIjLj3EESC_SC_SC_SC_iiiiiiiiiiiDpT3_, .Lfunc_end87-_ZL11k_bin_bcastIXadL_ZL6op_addffEE6__halfffJPKfS2_S2_S2_S2_S2_S2_EEvPKT0_PKT1_PT2_iii15HIP_vector_typeIjLj3EESC_SC_SC_SC_iiiiiiiiiiiDpT3_
                                        ; -- End function
	.section	.AMDGPU.csdata,"",@progbits
; Kernel info:
; codeLenInByte = 1096
; NumSgprs: 46
; NumVgprs: 18
; ScratchSize: 0
; MemoryBound: 0
; FloatMode: 240
; IeeeMode: 1
; LDSByteSize: 0 bytes/workgroup (compile time only)
; SGPRBlocks: 5
; VGPRBlocks: 2
; NumSGPRsForWavesPerEU: 46
; NumVGPRsForWavesPerEU: 18
; Occupancy: 16
; WaveLimiterHint : 1
; COMPUTE_PGM_RSRC2:SCRATCH_EN: 0
; COMPUTE_PGM_RSRC2:USER_SGPR: 13
; COMPUTE_PGM_RSRC2:TRAP_HANDLER: 0
; COMPUTE_PGM_RSRC2:TGID_X_EN: 1
; COMPUTE_PGM_RSRC2:TGID_Y_EN: 1
; COMPUTE_PGM_RSRC2:TGID_Z_EN: 1
; COMPUTE_PGM_RSRC2:TIDIG_COMP_CNT: 2
	.section	.text._ZL19k_bin_bcast_unravelIXadL_ZL6op_addffEEfffJPKfS1_S1_S1_S1_S1_S1_S1_EEvPKT0_PKT1_PT2_15HIP_vector_typeIjLj3EESB_SB_jSB_SB_SB_SB_SB_SB_iiiiiiiiiiiDpT3_,"axG",@progbits,_ZL19k_bin_bcast_unravelIXadL_ZL6op_addffEEfffJPKfS1_S1_S1_S1_S1_S1_S1_EEvPKT0_PKT1_PT2_15HIP_vector_typeIjLj3EESB_SB_jSB_SB_SB_SB_SB_SB_iiiiiiiiiiiDpT3_,comdat
	.globl	_ZL19k_bin_bcast_unravelIXadL_ZL6op_addffEEfffJPKfS1_S1_S1_S1_S1_S1_S1_EEvPKT0_PKT1_PT2_15HIP_vector_typeIjLj3EESB_SB_jSB_SB_SB_SB_SB_SB_iiiiiiiiiiiDpT3_ ; -- Begin function _ZL19k_bin_bcast_unravelIXadL_ZL6op_addffEEfffJPKfS1_S1_S1_S1_S1_S1_S1_EEvPKT0_PKT1_PT2_15HIP_vector_typeIjLj3EESB_SB_jSB_SB_SB_SB_SB_SB_iiiiiiiiiiiDpT3_
	.p2align	8
	.type	_ZL19k_bin_bcast_unravelIXadL_ZL6op_addffEEfffJPKfS1_S1_S1_S1_S1_S1_S1_EEvPKT0_PKT1_PT2_15HIP_vector_typeIjLj3EESB_SB_jSB_SB_SB_SB_SB_SB_iiiiiiiiiiiDpT3_,@function
_ZL19k_bin_bcast_unravelIXadL_ZL6op_addffEEfffJPKfS1_S1_S1_S1_S1_S1_S1_EEvPKT0_PKT1_PT2_15HIP_vector_typeIjLj3EESB_SB_jSB_SB_SB_SB_SB_SB_iiiiiiiiiiiDpT3_: ; @_ZL19k_bin_bcast_unravelIXadL_ZL6op_addffEEfffJPKfS1_S1_S1_S1_S1_S1_S1_EEvPKT0_PKT1_PT2_15HIP_vector_typeIjLj3EESB_SB_jSB_SB_SB_SB_SB_SB_iiiiiiiiiiiDpT3_
; %bb.0:
	s_clause 0x1
	s_load_b32 s2, s[0:1], 0x104
	s_load_b256 s[4:11], s[0:1], 0x38
	s_waitcnt lgkmcnt(0)
	s_and_b32 s2, s2, 0xffff
	s_delay_alu instid0(SALU_CYCLE_1) | instskip(SKIP_3) | instid1(VALU_DEP_1)
	v_mad_u64_u32 v[2:3], null, s15, s2, v[0:1]
	s_clause 0x1
	s_load_b128 s[12:15], s[0:1], 0x18
	s_load_b32 s2, s[0:1], 0x2c
	v_mul_hi_u32 v0, v2, s6
	s_delay_alu instid0(VALU_DEP_1) | instskip(NEXT) | instid1(VALU_DEP_1)
	v_add_nc_u32_e32 v0, v2, v0
	v_lshrrev_b32_e32 v1, s7, v0
	s_delay_alu instid0(VALU_DEP_1) | instskip(NEXT) | instid1(VALU_DEP_1)
	v_mul_lo_u32 v0, v1, s8
	v_sub_nc_u32_e32 v0, v2, v0
	s_delay_alu instid0(VALU_DEP_1) | instskip(NEXT) | instid1(VALU_DEP_1)
	v_mul_hi_u32 v2, v0, s9
	v_add_nc_u32_e32 v2, v0, v2
	s_delay_alu instid0(VALU_DEP_1) | instskip(NEXT) | instid1(VALU_DEP_1)
	v_lshrrev_b32_e32 v2, s10, v2
	v_mul_lo_u32 v3, v2, s11
	v_cmp_gt_u32_e64 s3, s4, v2
	v_cmp_gt_u32_e64 s4, s5, v1
	s_delay_alu instid0(VALU_DEP_3) | instskip(SKIP_1) | instid1(VALU_DEP_1)
	v_sub_nc_u32_e32 v0, v0, v3
	s_waitcnt lgkmcnt(0)
	v_mul_hi_u32 v3, v0, s12
	s_delay_alu instid0(VALU_DEP_1) | instskip(NEXT) | instid1(VALU_DEP_1)
	v_add_nc_u32_e32 v3, v0, v3
	v_lshrrev_b32_e32 v3, s13, v3
	s_delay_alu instid0(VALU_DEP_1) | instskip(SKIP_1) | instid1(VALU_DEP_2)
	v_mul_lo_u32 v4, v3, s14
	v_cmp_gt_u32_e64 s2, s2, v3
	v_sub_nc_u32_e32 v0, v0, v4
	s_delay_alu instid0(VALU_DEP_1) | instskip(NEXT) | instid1(VALU_DEP_3)
	v_cmp_gt_u32_e32 vcc_lo, s14, v0
	s_and_b32 s2, vcc_lo, s2
	s_delay_alu instid0(SALU_CYCLE_1) | instskip(NEXT) | instid1(SALU_CYCLE_1)
	s_and_b32 s2, s2, s3
	s_and_b32 s2, s4, s2
	s_delay_alu instid0(SALU_CYCLE_1)
	s_and_saveexec_b32 s3, s2
	s_cbranch_execz .LBB88_5
; %bb.1:
	s_clause 0x4
	s_load_b64 s[2:3], s[0:1], 0x0
	s_load_b128 s[12:15], s[0:1], 0xa8
	s_load_b256 s[20:27], s[0:1], 0x88
	s_load_b128 s[16:19], s[0:1], 0x78
	s_load_b256 s[4:11], s[0:1], 0x58
	s_waitcnt lgkmcnt(0)
	s_cmp_eq_u64 s[2:3], 0
	s_cbranch_scc1 .LBB88_3
; %bb.2:
	v_mul_lo_u32 v4, v1, s26
	v_mul_lo_u32 v6, v2, s25
	;; [unrolled: 1-line block ×3, first 2 shown]
	v_mov_b32_e32 v5, 0
	s_delay_alu instid0(VALU_DEP_2) | instskip(NEXT) | instid1(VALU_DEP_1)
	v_add3_u32 v4, v6, v4, v7
	v_lshlrev_b64 v[6:7], 2, v[4:5]
	v_mul_lo_u32 v4, v0, s23
	s_delay_alu instid0(VALU_DEP_2) | instskip(NEXT) | instid1(VALU_DEP_3)
	v_add_co_u32 v6, vcc_lo, s2, v6
	v_add_co_ci_u32_e32 v7, vcc_lo, s3, v7, vcc_lo
	s_delay_alu instid0(VALU_DEP_3) | instskip(NEXT) | instid1(VALU_DEP_1)
	v_lshlrev_b64 v[4:5], 2, v[4:5]
	v_add_co_u32 v4, vcc_lo, v6, v4
	s_delay_alu instid0(VALU_DEP_2)
	v_add_co_ci_u32_e32 v5, vcc_lo, v7, v5, vcc_lo
	global_load_b32 v4, v[4:5], off
	s_branch .LBB88_4
.LBB88_3:
	v_mov_b32_e32 v4, 0
.LBB88_4:
	v_mul_hi_u32 v5, s17, v1
	v_mul_hi_u32 v6, s10, v2
	;; [unrolled: 1-line block ×4, first 2 shown]
	s_delay_alu instid0(VALU_DEP_4) | instskip(NEXT) | instid1(VALU_DEP_4)
	v_add_nc_u32_e32 v5, v1, v5
	v_add_nc_u32_e32 v6, v2, v6
	s_delay_alu instid0(VALU_DEP_4) | instskip(NEXT) | instid1(VALU_DEP_4)
	v_add_nc_u32_e32 v7, v3, v7
	v_add_nc_u32_e32 v8, v0, v8
	s_delay_alu instid0(VALU_DEP_4) | instskip(NEXT) | instid1(VALU_DEP_4)
	v_lshrrev_b32_e32 v5, s18, v5
	v_lshrrev_b32_e32 v6, s11, v6
	s_delay_alu instid0(VALU_DEP_4) | instskip(NEXT) | instid1(VALU_DEP_4)
	v_lshrrev_b32_e32 v7, s8, v7
	v_lshrrev_b32_e32 v8, s5, v8
	s_delay_alu instid0(VALU_DEP_4) | instskip(NEXT) | instid1(VALU_DEP_4)
	v_mul_lo_u32 v5, v5, s19
	v_mul_lo_u32 v6, v6, s16
	s_delay_alu instid0(VALU_DEP_4) | instskip(NEXT) | instid1(VALU_DEP_4)
	v_mul_lo_u32 v7, v7, s9
	v_mul_lo_u32 v8, v8, s6
	s_delay_alu instid0(VALU_DEP_4) | instskip(NEXT) | instid1(VALU_DEP_4)
	v_sub_nc_u32_e32 v5, v1, v5
	v_sub_nc_u32_e32 v6, v2, v6
	s_delay_alu instid0(VALU_DEP_4) | instskip(NEXT) | instid1(VALU_DEP_4)
	v_sub_nc_u32_e32 v7, v3, v7
	v_sub_nc_u32_e32 v8, v0, v8
	v_mul_lo_u32 v1, v1, s22
	v_mul_lo_u32 v5, v5, s14
	;; [unrolled: 1-line block ×5, first 2 shown]
	s_clause 0x1
	s_load_b512 s[4:19], s[0:1], 0xb8
	s_load_b64 s[0:1], s[0:1], 0x10
	v_mul_lo_u32 v2, v2, s21
	s_delay_alu instid0(VALU_DEP_3) | instskip(NEXT) | instid1(VALU_DEP_3)
	v_add3_u32 v5, v6, v5, v7
	v_ashrrev_i32_e32 v6, 31, v8
	s_delay_alu instid0(VALU_DEP_2) | instskip(SKIP_1) | instid1(VALU_DEP_2)
	v_ashrrev_i32_e32 v7, 31, v5
	v_add_co_u32 v5, vcc_lo, v8, v5
	v_add_co_ci_u32_e32 v6, vcc_lo, v6, v7, vcc_lo
	s_delay_alu instid0(VALU_DEP_1) | instskip(SKIP_1) | instid1(VALU_DEP_1)
	v_lshlrev_b64 v[5:6], 2, v[5:6]
	s_waitcnt lgkmcnt(0)
	v_add_co_u32 v7, vcc_lo, s4, v5
	s_delay_alu instid0(VALU_DEP_2)
	v_add_co_ci_u32_e32 v8, vcc_lo, s5, v6, vcc_lo
	v_add_co_u32 v9, vcc_lo, s6, v5
	v_add_co_ci_u32_e32 v10, vcc_lo, s7, v6, vcc_lo
	global_load_b32 v11, v[7:8], off
	v_add_co_u32 v7, vcc_lo, s8, v5
	v_add_co_ci_u32_e32 v8, vcc_lo, s9, v6, vcc_lo
	global_load_b32 v12, v[9:10], off
	;; [unrolled: 3-line block ×7, first 2 shown]
	global_load_b32 v5, v[5:6], off
	v_mul_lo_u32 v6, v3, s20
	v_mov_b32_e32 v3, 0
	s_delay_alu instid0(VALU_DEP_2) | instskip(NEXT) | instid1(VALU_DEP_2)
	v_add3_u32 v2, v2, v1, v6
	v_mov_b32_e32 v1, v3
	s_delay_alu instid0(VALU_DEP_2) | instskip(NEXT) | instid1(VALU_DEP_2)
	v_lshlrev_b64 v[2:3], 2, v[2:3]
	v_lshlrev_b64 v[0:1], 2, v[0:1]
	s_delay_alu instid0(VALU_DEP_2) | instskip(NEXT) | instid1(VALU_DEP_3)
	v_add_co_u32 v2, vcc_lo, s0, v2
	v_add_co_ci_u32_e32 v3, vcc_lo, s1, v3, vcc_lo
	s_delay_alu instid0(VALU_DEP_2) | instskip(NEXT) | instid1(VALU_DEP_2)
	v_add_co_u32 v0, vcc_lo, v2, v0
	v_add_co_ci_u32_e32 v1, vcc_lo, v3, v1, vcc_lo
	s_waitcnt vmcnt(7)
	v_add_f32_e32 v4, v4, v11
	s_waitcnt vmcnt(6)
	s_delay_alu instid0(VALU_DEP_1) | instskip(SKIP_1) | instid1(VALU_DEP_1)
	v_add_f32_e32 v4, v4, v12
	s_waitcnt vmcnt(5)
	v_add_f32_e32 v4, v4, v13
	s_waitcnt vmcnt(4)
	s_delay_alu instid0(VALU_DEP_1) | instskip(SKIP_1) | instid1(VALU_DEP_1)
	v_add_f32_e32 v4, v4, v14
	s_waitcnt vmcnt(3)
	v_add_f32_e32 v4, v4, v15
	s_waitcnt vmcnt(2)
	s_delay_alu instid0(VALU_DEP_1) | instskip(SKIP_1) | instid1(VALU_DEP_1)
	v_add_f32_e32 v4, v4, v9
	s_waitcnt vmcnt(1)
	v_add_f32_e32 v4, v4, v7
	s_waitcnt vmcnt(0)
	s_delay_alu instid0(VALU_DEP_1)
	v_add_f32_e32 v4, v4, v5
	global_store_b32 v[0:1], v4, off
.LBB88_5:
	s_nop 0
	s_sendmsg sendmsg(MSG_DEALLOC_VGPRS)
	s_endpgm
	.section	.rodata,"a",@progbits
	.p2align	6, 0x0
	.amdhsa_kernel _ZL19k_bin_bcast_unravelIXadL_ZL6op_addffEEfffJPKfS1_S1_S1_S1_S1_S1_S1_EEvPKT0_PKT1_PT2_15HIP_vector_typeIjLj3EESB_SB_jSB_SB_SB_SB_SB_SB_iiiiiiiiiiiDpT3_
		.amdhsa_group_segment_fixed_size 0
		.amdhsa_private_segment_fixed_size 0
		.amdhsa_kernarg_size 504
		.amdhsa_user_sgpr_count 15
		.amdhsa_user_sgpr_dispatch_ptr 0
		.amdhsa_user_sgpr_queue_ptr 0
		.amdhsa_user_sgpr_kernarg_segment_ptr 1
		.amdhsa_user_sgpr_dispatch_id 0
		.amdhsa_user_sgpr_private_segment_size 0
		.amdhsa_wavefront_size32 1
		.amdhsa_uses_dynamic_stack 0
		.amdhsa_enable_private_segment 0
		.amdhsa_system_sgpr_workgroup_id_x 1
		.amdhsa_system_sgpr_workgroup_id_y 0
		.amdhsa_system_sgpr_workgroup_id_z 0
		.amdhsa_system_sgpr_workgroup_info 0
		.amdhsa_system_vgpr_workitem_id 0
		.amdhsa_next_free_vgpr 16
		.amdhsa_next_free_sgpr 28
		.amdhsa_reserve_vcc 1
		.amdhsa_float_round_mode_32 0
		.amdhsa_float_round_mode_16_64 0
		.amdhsa_float_denorm_mode_32 3
		.amdhsa_float_denorm_mode_16_64 3
		.amdhsa_dx10_clamp 1
		.amdhsa_ieee_mode 1
		.amdhsa_fp16_overflow 0
		.amdhsa_workgroup_processor_mode 1
		.amdhsa_memory_ordered 1
		.amdhsa_forward_progress 0
		.amdhsa_shared_vgpr_count 0
		.amdhsa_exception_fp_ieee_invalid_op 0
		.amdhsa_exception_fp_denorm_src 0
		.amdhsa_exception_fp_ieee_div_zero 0
		.amdhsa_exception_fp_ieee_overflow 0
		.amdhsa_exception_fp_ieee_underflow 0
		.amdhsa_exception_fp_ieee_inexact 0
		.amdhsa_exception_int_div_zero 0
	.end_amdhsa_kernel
	.section	.text._ZL19k_bin_bcast_unravelIXadL_ZL6op_addffEEfffJPKfS1_S1_S1_S1_S1_S1_S1_EEvPKT0_PKT1_PT2_15HIP_vector_typeIjLj3EESB_SB_jSB_SB_SB_SB_SB_SB_iiiiiiiiiiiDpT3_,"axG",@progbits,_ZL19k_bin_bcast_unravelIXadL_ZL6op_addffEEfffJPKfS1_S1_S1_S1_S1_S1_S1_EEvPKT0_PKT1_PT2_15HIP_vector_typeIjLj3EESB_SB_jSB_SB_SB_SB_SB_SB_iiiiiiiiiiiDpT3_,comdat
.Lfunc_end88:
	.size	_ZL19k_bin_bcast_unravelIXadL_ZL6op_addffEEfffJPKfS1_S1_S1_S1_S1_S1_S1_EEvPKT0_PKT1_PT2_15HIP_vector_typeIjLj3EESB_SB_jSB_SB_SB_SB_SB_SB_iiiiiiiiiiiDpT3_, .Lfunc_end88-_ZL19k_bin_bcast_unravelIXadL_ZL6op_addffEEfffJPKfS1_S1_S1_S1_S1_S1_S1_EEvPKT0_PKT1_PT2_15HIP_vector_typeIjLj3EESB_SB_jSB_SB_SB_SB_SB_SB_iiiiiiiiiiiDpT3_
                                        ; -- End function
	.section	.AMDGPU.csdata,"",@progbits
; Kernel info:
; codeLenInByte = 1020
; NumSgprs: 30
; NumVgprs: 16
; ScratchSize: 0
; MemoryBound: 0
; FloatMode: 240
; IeeeMode: 1
; LDSByteSize: 0 bytes/workgroup (compile time only)
; SGPRBlocks: 3
; VGPRBlocks: 1
; NumSGPRsForWavesPerEU: 30
; NumVGPRsForWavesPerEU: 16
; Occupancy: 16
; WaveLimiterHint : 1
; COMPUTE_PGM_RSRC2:SCRATCH_EN: 0
; COMPUTE_PGM_RSRC2:USER_SGPR: 15
; COMPUTE_PGM_RSRC2:TRAP_HANDLER: 0
; COMPUTE_PGM_RSRC2:TGID_X_EN: 1
; COMPUTE_PGM_RSRC2:TGID_Y_EN: 0
; COMPUTE_PGM_RSRC2:TGID_Z_EN: 0
; COMPUTE_PGM_RSRC2:TIDIG_COMP_CNT: 0
	.section	.text._ZL11k_bin_bcastIXadL_ZL6op_addffEEfffJPKfS1_S1_S1_S1_S1_S1_S1_EEvPKT0_PKT1_PT2_iii15HIP_vector_typeIjLj3EESB_SB_SB_SB_iiiiiiiiiiiDpT3_,"axG",@progbits,_ZL11k_bin_bcastIXadL_ZL6op_addffEEfffJPKfS1_S1_S1_S1_S1_S1_S1_EEvPKT0_PKT1_PT2_iii15HIP_vector_typeIjLj3EESB_SB_SB_SB_iiiiiiiiiiiDpT3_,comdat
	.globl	_ZL11k_bin_bcastIXadL_ZL6op_addffEEfffJPKfS1_S1_S1_S1_S1_S1_S1_EEvPKT0_PKT1_PT2_iii15HIP_vector_typeIjLj3EESB_SB_SB_SB_iiiiiiiiiiiDpT3_ ; -- Begin function _ZL11k_bin_bcastIXadL_ZL6op_addffEEfffJPKfS1_S1_S1_S1_S1_S1_S1_EEvPKT0_PKT1_PT2_iii15HIP_vector_typeIjLj3EESB_SB_SB_SB_iiiiiiiiiiiDpT3_
	.p2align	8
	.type	_ZL11k_bin_bcastIXadL_ZL6op_addffEEfffJPKfS1_S1_S1_S1_S1_S1_S1_EEvPKT0_PKT1_PT2_iii15HIP_vector_typeIjLj3EESB_SB_SB_SB_iiiiiiiiiiiDpT3_,@function
_ZL11k_bin_bcastIXadL_ZL6op_addffEEfffJPKfS1_S1_S1_S1_S1_S1_S1_EEvPKT0_PKT1_PT2_iii15HIP_vector_typeIjLj3EESB_SB_SB_SB_iiiiiiiiiiiDpT3_: ; @_ZL11k_bin_bcastIXadL_ZL6op_addffEEfffJPKfS1_S1_S1_S1_S1_S1_S1_EEvPKT0_PKT1_PT2_iii15HIP_vector_typeIjLj3EESB_SB_SB_SB_iiiiiiiiiiiDpT3_
; %bb.0:
	s_clause 0x1
	s_load_b64 s[2:3], s[0:1], 0xdc
	s_load_b256 s[20:27], s[0:1], 0x18
	v_bfe_u32 v1, v0, 20, 10
	s_add_u32 s16, s0, 0xd0
	s_addc_u32 s17, s1, 0
	s_waitcnt lgkmcnt(0)
	s_and_b32 s3, s3, 0xffff
	s_delay_alu instid0(SALU_CYCLE_1) | instskip(SKIP_3) | instid1(VALU_DEP_3)
	v_mad_u64_u32 v[4:5], null, s15, s3, v[1:2]
	v_and_b32_e32 v2, 0x3ff, v0
	v_bfe_u32 v5, v0, 10, 10
	s_lshr_b32 s3, s2, 16
	v_mul_hi_u32 v1, v4, s23
	s_and_b32 s23, s2, 0xffff
	s_delay_alu instid0(VALU_DEP_1) | instskip(NEXT) | instid1(VALU_DEP_1)
	v_add_nc_u32_e32 v1, v4, v1
	v_lshrrev_b32_e32 v3, s24, v1
	s_delay_alu instid0(VALU_DEP_1) | instskip(SKIP_1) | instid1(VALU_DEP_2)
	v_mul_lo_u32 v6, v3, s25
	v_mad_u64_u32 v[0:1], null, s13, s23, v[2:3]
	v_mad_u64_u32 v[1:2], null, s14, s3, v[5:6]
	v_sub_nc_u32_e32 v4, v4, v6
	s_delay_alu instid0(VALU_DEP_3) | instskip(SKIP_1) | instid1(VALU_DEP_3)
	v_cmp_gt_u32_e32 vcc_lo, s20, v0
	v_cmp_gt_u32_e64 s3, s22, v3
	v_cmp_gt_u32_e64 s4, s25, v4
	;; [unrolled: 1-line block ×3, first 2 shown]
	s_delay_alu instid0(VALU_DEP_1)
	s_and_b32 s2, vcc_lo, s2
	s_delay_alu instid0(VALU_DEP_3) | instid1(SALU_CYCLE_1)
	s_and_b32 s2, s2, s3
	s_delay_alu instid0(VALU_DEP_2) | instid1(SALU_CYCLE_1)
	s_and_b32 s2, s2, s4
	s_delay_alu instid0(SALU_CYCLE_1)
	s_and_saveexec_b32 s3, s2
	s_cbranch_execz .LBB89_6
; %bb.1:
	v_cmp_gt_i32_e32 vcc_lo, s20, v0
	s_and_b32 exec_lo, exec_lo, vcc_lo
	s_cbranch_execz .LBB89_6
; %bb.2:
	s_clause 0x2
	s_load_b256 s[4:11], s[0:1], 0x3c
	s_load_b256 s[36:43], s[0:1], 0x60
	s_load_b128 s[28:31], s[0:1], 0x80
	s_load_b32 s21, s[16:17], 0x0
	s_clause 0x3
	s_load_b32 s12, s[0:1], 0x5c
	s_load_b64 s[2:3], s[0:1], 0x0
	s_load_b32 s22, s[0:1], 0x38
	s_load_b64 s[24:25], s[0:1], 0x10
	s_waitcnt lgkmcnt(0)
	v_mul_hi_u32 v2, s4, v1
	v_mul_hi_u32 v5, s7, v3
	;; [unrolled: 1-line block ×3, first 2 shown]
	v_mul_lo_u32 v9, v4, s42
	v_mul_lo_u32 v10, v3, s41
	;; [unrolled: 1-line block ×3, first 2 shown]
	v_mov_b32_e32 v6, 0
	v_mul_lo_u32 v12, v4, s38
	v_add_nc_u32_e32 v2, v1, v2
	v_add_nc_u32_e32 v5, v3, v5
	s_delay_alu instid0(VALU_DEP_4) | instskip(SKIP_1) | instid1(VALU_DEP_4)
	v_dual_mov_b32 v8, v6 :: v_dual_add_nc_u32 v7, v4, v7
	v_mul_lo_u32 v13, v3, s37
	v_lshrrev_b32_e32 v2, s5, v2
	s_delay_alu instid0(VALU_DEP_4) | instskip(NEXT) | instid1(VALU_DEP_4)
	v_lshrrev_b32_e32 v15, s8, v5
	v_lshrrev_b32_e32 v16, s11, v7
	v_add3_u32 v5, v10, v11, v9
	v_mul_lo_u32 v14, v1, s36
	v_mul_lo_u32 v9, v2, s6
	;; [unrolled: 1-line block ×4, first 2 shown]
	v_lshlrev_b64 v[5:6], 2, v[5:6]
	s_load_b512 s[4:19], s[0:1], 0x90
	s_cmp_lg_u64 s[2:3], 0
	v_mul_lo_u32 v2, s39, v0
	v_add3_u32 v7, v13, v14, v12
	v_sub_nc_u32_e32 v1, v1, v9
	v_sub_nc_u32_e32 v3, v3, v10
	;; [unrolled: 1-line block ×3, first 2 shown]
	v_add_co_u32 v9, vcc_lo, s2, v5
	v_add_co_ci_u32_e32 v5, vcc_lo, s3, v6, vcc_lo
	v_lshlrev_b64 v[7:8], 2, v[7:8]
	s_delay_alu instid0(VALU_DEP_4)
	v_mul_lo_u32 v10, v4, s30
	v_mul_lo_u32 v3, v3, s29
	;; [unrolled: 1-line block ×3, first 2 shown]
	s_cselect_b32 vcc_lo, -1, 0
	s_mul_i32 s2, s21, s23
	v_cndmask_b32_e32 v5, 0, v5, vcc_lo
	v_cndmask_b32_e32 v4, 0, v9, vcc_lo
	v_add_co_u32 v6, vcc_lo, s24, v7
	v_add_co_ci_u32_e32 v7, vcc_lo, s25, v8, vcc_lo
	s_delay_alu instid0(VALU_DEP_3)
	v_cmp_ne_u64_e32 vcc_lo, 0, v[4:5]
	v_add3_u32 v8, v3, v10, v1
	s_mov_b32 s3, 0
	s_mul_i32 s21, s2, s39
	s_sub_i32 s22, 0, s22
	s_branch .LBB89_4
.LBB89_3:                               ;   in Loop: Header=BB89_4 Depth=1
	s_or_b32 exec_lo, exec_lo, s1
	v_mul_hi_u32 v3, s26, v0
	v_add_nc_u32_e32 v2, s21, v2
	s_delay_alu instid0(VALU_DEP_2) | instskip(NEXT) | instid1(VALU_DEP_1)
	v_add_nc_u32_e32 v3, v0, v3
	v_lshrrev_b32_e32 v3, s27, v3
	s_waitcnt vmcnt(0)
	s_delay_alu instid0(VALU_DEP_1) | instskip(NEXT) | instid1(VALU_DEP_1)
	v_mad_u64_u32 v[9:10], null, s22, v3, v[0:1]
	v_mul_lo_u32 v3, v9, s43
	s_delay_alu instid0(VALU_DEP_1) | instskip(NEXT) | instid1(VALU_DEP_1)
	v_add_co_u32 v9, s0, v3, v8
	v_add_co_ci_u32_e64 v10, null, 0, 0, s0
	s_delay_alu instid0(VALU_DEP_1) | instskip(SKIP_1) | instid1(VALU_DEP_1)
	v_lshlrev_b64 v[9:10], 2, v[9:10]
	s_waitcnt lgkmcnt(0)
	v_add_co_u32 v11, s0, s4, v9
	s_delay_alu instid0(VALU_DEP_1) | instskip(SKIP_1) | instid1(VALU_DEP_1)
	v_add_co_ci_u32_e64 v12, s0, s5, v10, s0
	v_add_co_u32 v13, s0, s6, v9
	v_add_co_ci_u32_e64 v14, s0, s7, v10, s0
	global_load_b32 v3, v[11:12], off
	v_add_co_u32 v11, s0, s8, v9
	s_delay_alu instid0(VALU_DEP_1) | instskip(SKIP_2) | instid1(VALU_DEP_1)
	v_add_co_ci_u32_e64 v12, s0, s9, v10, s0
	global_load_b32 v15, v[13:14], off
	v_add_co_u32 v13, s0, s10, v9
	v_add_co_ci_u32_e64 v14, s0, s11, v10, s0
	global_load_b32 v16, v[11:12], off
	v_add_co_u32 v11, s0, s12, v9
	s_delay_alu instid0(VALU_DEP_1) | instskip(SKIP_2) | instid1(VALU_DEP_1)
	v_add_co_ci_u32_e64 v12, s0, s13, v10, s0
	global_load_b32 v17, v[13:14], off
	;; [unrolled: 7-line block ×3, first 2 shown]
	v_add_co_u32 v9, s0, s18, v9
	v_add_co_ci_u32_e64 v10, s0, s19, v10, s0
	global_load_b32 v11, v[11:12], off
	global_load_b32 v12, v[9:10], off
	s_waitcnt vmcnt(7)
	v_add_f32_e32 v1, v1, v3
	s_waitcnt vmcnt(6)
	s_delay_alu instid0(VALU_DEP_1) | instskip(SKIP_1) | instid1(VALU_DEP_1)
	v_add_f32_e32 v1, v1, v15
	s_waitcnt vmcnt(5)
	v_add_f32_e32 v1, v1, v16
	s_waitcnt vmcnt(4)
	s_delay_alu instid0(VALU_DEP_1) | instskip(SKIP_1) | instid1(VALU_DEP_1)
	v_add_f32_e32 v1, v1, v17
	s_waitcnt vmcnt(3)
	v_add_f32_e32 v3, v1, v18
	v_ashrrev_i32_e32 v1, 31, v0
	s_waitcnt vmcnt(2)
	s_delay_alu instid0(VALU_DEP_2) | instskip(NEXT) | instid1(VALU_DEP_2)
	v_add_f32_e32 v3, v3, v13
	v_lshlrev_b64 v[9:10], 2, v[0:1]
	s_waitcnt vmcnt(1)
	s_delay_alu instid0(VALU_DEP_2) | instskip(NEXT) | instid1(VALU_DEP_1)
	v_dual_add_f32 v1, v3, v11 :: v_dual_add_nc_u32 v0, s2, v0
	v_cmp_le_i32_e64 s0, s20, v0
	s_delay_alu instid0(VALU_DEP_3) | instskip(NEXT) | instid1(VALU_DEP_1)
	v_add_co_u32 v9, s1, v6, v9
	v_add_co_ci_u32_e64 v10, s1, v7, v10, s1
	s_waitcnt vmcnt(0)
	v_add_f32_e32 v1, v1, v12
	s_or_b32 s3, s0, s3
	global_store_b32 v[9:10], v1, off
	s_and_not1_b32 exec_lo, exec_lo, s3
	s_cbranch_execz .LBB89_6
.LBB89_4:                               ; =>This Inner Loop Header: Depth=1
	v_mov_b32_e32 v1, 0
	s_and_saveexec_b32 s1, vcc_lo
	s_cbranch_execz .LBB89_3
; %bb.5:                                ;   in Loop: Header=BB89_4 Depth=1
	v_ashrrev_i32_e32 v3, 31, v2
	s_delay_alu instid0(VALU_DEP_1) | instskip(NEXT) | instid1(VALU_DEP_1)
	v_lshlrev_b64 v[9:10], 2, v[2:3]
	v_add_co_u32 v9, s0, v4, v9
	s_delay_alu instid0(VALU_DEP_1)
	v_add_co_ci_u32_e64 v10, s0, v5, v10, s0
	global_load_b32 v1, v[9:10], off
	s_branch .LBB89_3
.LBB89_6:
	s_nop 0
	s_sendmsg sendmsg(MSG_DEALLOC_VGPRS)
	s_endpgm
	.section	.rodata,"a",@progbits
	.p2align	6, 0x0
	.amdhsa_kernel _ZL11k_bin_bcastIXadL_ZL6op_addffEEfffJPKfS1_S1_S1_S1_S1_S1_S1_EEvPKT0_PKT1_PT2_iii15HIP_vector_typeIjLj3EESB_SB_SB_SB_iiiiiiiiiiiDpT3_
		.amdhsa_group_segment_fixed_size 0
		.amdhsa_private_segment_fixed_size 0
		.amdhsa_kernarg_size 464
		.amdhsa_user_sgpr_count 13
		.amdhsa_user_sgpr_dispatch_ptr 0
		.amdhsa_user_sgpr_queue_ptr 0
		.amdhsa_user_sgpr_kernarg_segment_ptr 1
		.amdhsa_user_sgpr_dispatch_id 0
		.amdhsa_user_sgpr_private_segment_size 0
		.amdhsa_wavefront_size32 1
		.amdhsa_uses_dynamic_stack 0
		.amdhsa_enable_private_segment 0
		.amdhsa_system_sgpr_workgroup_id_x 1
		.amdhsa_system_sgpr_workgroup_id_y 1
		.amdhsa_system_sgpr_workgroup_id_z 1
		.amdhsa_system_sgpr_workgroup_info 0
		.amdhsa_system_vgpr_workitem_id 2
		.amdhsa_next_free_vgpr 19
		.amdhsa_next_free_sgpr 44
		.amdhsa_reserve_vcc 1
		.amdhsa_float_round_mode_32 0
		.amdhsa_float_round_mode_16_64 0
		.amdhsa_float_denorm_mode_32 3
		.amdhsa_float_denorm_mode_16_64 3
		.amdhsa_dx10_clamp 1
		.amdhsa_ieee_mode 1
		.amdhsa_fp16_overflow 0
		.amdhsa_workgroup_processor_mode 1
		.amdhsa_memory_ordered 1
		.amdhsa_forward_progress 0
		.amdhsa_shared_vgpr_count 0
		.amdhsa_exception_fp_ieee_invalid_op 0
		.amdhsa_exception_fp_denorm_src 0
		.amdhsa_exception_fp_ieee_div_zero 0
		.amdhsa_exception_fp_ieee_overflow 0
		.amdhsa_exception_fp_ieee_underflow 0
		.amdhsa_exception_fp_ieee_inexact 0
		.amdhsa_exception_int_div_zero 0
	.end_amdhsa_kernel
	.section	.text._ZL11k_bin_bcastIXadL_ZL6op_addffEEfffJPKfS1_S1_S1_S1_S1_S1_S1_EEvPKT0_PKT1_PT2_iii15HIP_vector_typeIjLj3EESB_SB_SB_SB_iiiiiiiiiiiDpT3_,"axG",@progbits,_ZL11k_bin_bcastIXadL_ZL6op_addffEEfffJPKfS1_S1_S1_S1_S1_S1_S1_EEvPKT0_PKT1_PT2_iii15HIP_vector_typeIjLj3EESB_SB_SB_SB_iiiiiiiiiiiDpT3_,comdat
.Lfunc_end89:
	.size	_ZL11k_bin_bcastIXadL_ZL6op_addffEEfffJPKfS1_S1_S1_S1_S1_S1_S1_EEvPKT0_PKT1_PT2_iii15HIP_vector_typeIjLj3EESB_SB_SB_SB_iiiiiiiiiiiDpT3_, .Lfunc_end89-_ZL11k_bin_bcastIXadL_ZL6op_addffEEfffJPKfS1_S1_S1_S1_S1_S1_S1_EEvPKT0_PKT1_PT2_iii15HIP_vector_typeIjLj3EESB_SB_SB_SB_iiiiiiiiiiiDpT3_
                                        ; -- End function
	.section	.AMDGPU.csdata,"",@progbits
; Kernel info:
; codeLenInByte = 1112
; NumSgprs: 46
; NumVgprs: 19
; ScratchSize: 0
; MemoryBound: 0
; FloatMode: 240
; IeeeMode: 1
; LDSByteSize: 0 bytes/workgroup (compile time only)
; SGPRBlocks: 5
; VGPRBlocks: 2
; NumSGPRsForWavesPerEU: 46
; NumVGPRsForWavesPerEU: 19
; Occupancy: 16
; WaveLimiterHint : 1
; COMPUTE_PGM_RSRC2:SCRATCH_EN: 0
; COMPUTE_PGM_RSRC2:USER_SGPR: 13
; COMPUTE_PGM_RSRC2:TRAP_HANDLER: 0
; COMPUTE_PGM_RSRC2:TGID_X_EN: 1
; COMPUTE_PGM_RSRC2:TGID_Y_EN: 1
; COMPUTE_PGM_RSRC2:TGID_Z_EN: 1
; COMPUTE_PGM_RSRC2:TIDIG_COMP_CNT: 2
	.section	.text._ZL19k_bin_bcast_unravelIXadL_ZL6op_addffEE6__halfS0_S0_JPKS0_S2_S2_S2_S2_S2_S2_S2_EEvPKT0_PKT1_PT2_15HIP_vector_typeIjLj3EESC_SC_jSC_SC_SC_SC_SC_SC_iiiiiiiiiiiDpT3_,"axG",@progbits,_ZL19k_bin_bcast_unravelIXadL_ZL6op_addffEE6__halfS0_S0_JPKS0_S2_S2_S2_S2_S2_S2_S2_EEvPKT0_PKT1_PT2_15HIP_vector_typeIjLj3EESC_SC_jSC_SC_SC_SC_SC_SC_iiiiiiiiiiiDpT3_,comdat
	.globl	_ZL19k_bin_bcast_unravelIXadL_ZL6op_addffEE6__halfS0_S0_JPKS0_S2_S2_S2_S2_S2_S2_S2_EEvPKT0_PKT1_PT2_15HIP_vector_typeIjLj3EESC_SC_jSC_SC_SC_SC_SC_SC_iiiiiiiiiiiDpT3_ ; -- Begin function _ZL19k_bin_bcast_unravelIXadL_ZL6op_addffEE6__halfS0_S0_JPKS0_S2_S2_S2_S2_S2_S2_S2_EEvPKT0_PKT1_PT2_15HIP_vector_typeIjLj3EESC_SC_jSC_SC_SC_SC_SC_SC_iiiiiiiiiiiDpT3_
	.p2align	8
	.type	_ZL19k_bin_bcast_unravelIXadL_ZL6op_addffEE6__halfS0_S0_JPKS0_S2_S2_S2_S2_S2_S2_S2_EEvPKT0_PKT1_PT2_15HIP_vector_typeIjLj3EESC_SC_jSC_SC_SC_SC_SC_SC_iiiiiiiiiiiDpT3_,@function
_ZL19k_bin_bcast_unravelIXadL_ZL6op_addffEE6__halfS0_S0_JPKS0_S2_S2_S2_S2_S2_S2_S2_EEvPKT0_PKT1_PT2_15HIP_vector_typeIjLj3EESC_SC_jSC_SC_SC_SC_SC_SC_iiiiiiiiiiiDpT3_: ; @_ZL19k_bin_bcast_unravelIXadL_ZL6op_addffEE6__halfS0_S0_JPKS0_S2_S2_S2_S2_S2_S2_S2_EEvPKT0_PKT1_PT2_15HIP_vector_typeIjLj3EESC_SC_jSC_SC_SC_SC_SC_SC_iiiiiiiiiiiDpT3_
; %bb.0:
	s_clause 0x1
	s_load_b32 s2, s[0:1], 0x104
	s_load_b256 s[4:11], s[0:1], 0x38
	s_waitcnt lgkmcnt(0)
	s_and_b32 s2, s2, 0xffff
	s_delay_alu instid0(SALU_CYCLE_1) | instskip(SKIP_3) | instid1(VALU_DEP_1)
	v_mad_u64_u32 v[2:3], null, s15, s2, v[0:1]
	s_clause 0x1
	s_load_b128 s[12:15], s[0:1], 0x18
	s_load_b32 s2, s[0:1], 0x2c
	v_mul_hi_u32 v0, v2, s6
	s_delay_alu instid0(VALU_DEP_1) | instskip(NEXT) | instid1(VALU_DEP_1)
	v_add_nc_u32_e32 v0, v2, v0
	v_lshrrev_b32_e32 v1, s7, v0
	s_delay_alu instid0(VALU_DEP_1) | instskip(NEXT) | instid1(VALU_DEP_1)
	v_mul_lo_u32 v0, v1, s8
	v_sub_nc_u32_e32 v0, v2, v0
	s_delay_alu instid0(VALU_DEP_1) | instskip(NEXT) | instid1(VALU_DEP_1)
	v_mul_hi_u32 v2, v0, s9
	v_add_nc_u32_e32 v2, v0, v2
	s_delay_alu instid0(VALU_DEP_1) | instskip(NEXT) | instid1(VALU_DEP_1)
	v_lshrrev_b32_e32 v2, s10, v2
	v_mul_lo_u32 v3, v2, s11
	v_cmp_gt_u32_e64 s3, s4, v2
	v_cmp_gt_u32_e64 s4, s5, v1
	s_delay_alu instid0(VALU_DEP_3) | instskip(SKIP_1) | instid1(VALU_DEP_1)
	v_sub_nc_u32_e32 v0, v0, v3
	s_waitcnt lgkmcnt(0)
	v_mul_hi_u32 v3, v0, s12
	s_delay_alu instid0(VALU_DEP_1) | instskip(NEXT) | instid1(VALU_DEP_1)
	v_add_nc_u32_e32 v3, v0, v3
	v_lshrrev_b32_e32 v3, s13, v3
	s_delay_alu instid0(VALU_DEP_1) | instskip(SKIP_1) | instid1(VALU_DEP_2)
	v_mul_lo_u32 v4, v3, s14
	v_cmp_gt_u32_e64 s2, s2, v3
	v_sub_nc_u32_e32 v0, v0, v4
	s_delay_alu instid0(VALU_DEP_1) | instskip(NEXT) | instid1(VALU_DEP_3)
	v_cmp_gt_u32_e32 vcc_lo, s14, v0
	s_and_b32 s2, vcc_lo, s2
	s_delay_alu instid0(SALU_CYCLE_1) | instskip(NEXT) | instid1(SALU_CYCLE_1)
	s_and_b32 s2, s2, s3
	s_and_b32 s2, s4, s2
	s_delay_alu instid0(SALU_CYCLE_1)
	s_and_saveexec_b32 s3, s2
	s_cbranch_execz .LBB90_5
; %bb.1:
	s_clause 0x4
	s_load_b64 s[2:3], s[0:1], 0x0
	s_load_b128 s[12:15], s[0:1], 0xa8
	s_load_b256 s[20:27], s[0:1], 0x88
	s_load_b128 s[16:19], s[0:1], 0x78
	s_load_b256 s[4:11], s[0:1], 0x58
	s_waitcnt lgkmcnt(0)
	s_cmp_eq_u64 s[2:3], 0
	s_cbranch_scc1 .LBB90_3
; %bb.2:
	v_mul_lo_u32 v4, v1, s26
	v_mul_lo_u32 v6, v2, s25
	;; [unrolled: 1-line block ×3, first 2 shown]
	v_mov_b32_e32 v5, 0
	s_delay_alu instid0(VALU_DEP_2) | instskip(NEXT) | instid1(VALU_DEP_1)
	v_add3_u32 v4, v6, v4, v7
	v_lshlrev_b64 v[6:7], 1, v[4:5]
	v_mul_lo_u32 v4, v0, s23
	s_delay_alu instid0(VALU_DEP_2) | instskip(NEXT) | instid1(VALU_DEP_3)
	v_add_co_u32 v6, vcc_lo, s2, v6
	v_add_co_ci_u32_e32 v7, vcc_lo, s3, v7, vcc_lo
	s_delay_alu instid0(VALU_DEP_3) | instskip(NEXT) | instid1(VALU_DEP_1)
	v_lshlrev_b64 v[4:5], 1, v[4:5]
	v_add_co_u32 v4, vcc_lo, v6, v4
	s_delay_alu instid0(VALU_DEP_2)
	v_add_co_ci_u32_e32 v5, vcc_lo, v7, v5, vcc_lo
	global_load_u16 v4, v[4:5], off
	s_waitcnt vmcnt(0)
	v_cvt_f32_f16_e32 v4, v4
	s_branch .LBB90_4
.LBB90_3:
	v_mov_b32_e32 v4, 0
.LBB90_4:
	v_mul_hi_u32 v5, s17, v1
	v_mul_hi_u32 v6, s10, v2
	;; [unrolled: 1-line block ×4, first 2 shown]
	s_delay_alu instid0(VALU_DEP_4) | instskip(NEXT) | instid1(VALU_DEP_4)
	v_add_nc_u32_e32 v5, v1, v5
	v_add_nc_u32_e32 v6, v2, v6
	s_delay_alu instid0(VALU_DEP_4) | instskip(NEXT) | instid1(VALU_DEP_4)
	v_add_nc_u32_e32 v7, v3, v7
	v_add_nc_u32_e32 v8, v0, v8
	s_delay_alu instid0(VALU_DEP_4) | instskip(NEXT) | instid1(VALU_DEP_4)
	v_lshrrev_b32_e32 v5, s18, v5
	v_lshrrev_b32_e32 v6, s11, v6
	s_delay_alu instid0(VALU_DEP_4) | instskip(NEXT) | instid1(VALU_DEP_4)
	v_lshrrev_b32_e32 v7, s8, v7
	v_lshrrev_b32_e32 v8, s5, v8
	s_delay_alu instid0(VALU_DEP_4) | instskip(NEXT) | instid1(VALU_DEP_4)
	v_mul_lo_u32 v5, v5, s19
	v_mul_lo_u32 v6, v6, s16
	s_delay_alu instid0(VALU_DEP_4) | instskip(NEXT) | instid1(VALU_DEP_4)
	v_mul_lo_u32 v7, v7, s9
	v_mul_lo_u32 v8, v8, s6
	s_delay_alu instid0(VALU_DEP_4) | instskip(NEXT) | instid1(VALU_DEP_4)
	v_sub_nc_u32_e32 v5, v1, v5
	v_sub_nc_u32_e32 v6, v2, v6
	s_delay_alu instid0(VALU_DEP_4) | instskip(NEXT) | instid1(VALU_DEP_4)
	v_sub_nc_u32_e32 v7, v3, v7
	v_sub_nc_u32_e32 v8, v0, v8
	v_mul_lo_u32 v1, v1, s22
	v_mul_lo_u32 v5, v5, s14
	;; [unrolled: 1-line block ×5, first 2 shown]
	s_clause 0x1
	s_load_b512 s[4:19], s[0:1], 0xb8
	s_load_b64 s[0:1], s[0:1], 0x10
	v_mul_lo_u32 v2, v2, s21
	s_delay_alu instid0(VALU_DEP_3) | instskip(NEXT) | instid1(VALU_DEP_3)
	v_add3_u32 v5, v6, v5, v7
	v_ashrrev_i32_e32 v6, 31, v8
	s_delay_alu instid0(VALU_DEP_2) | instskip(SKIP_1) | instid1(VALU_DEP_2)
	v_ashrrev_i32_e32 v7, 31, v5
	v_add_co_u32 v5, vcc_lo, v8, v5
	v_add_co_ci_u32_e32 v6, vcc_lo, v6, v7, vcc_lo
	s_delay_alu instid0(VALU_DEP_1) | instskip(SKIP_1) | instid1(VALU_DEP_1)
	v_lshlrev_b64 v[5:6], 1, v[5:6]
	s_waitcnt lgkmcnt(0)
	v_add_co_u32 v7, vcc_lo, s4, v5
	s_delay_alu instid0(VALU_DEP_2)
	v_add_co_ci_u32_e32 v8, vcc_lo, s5, v6, vcc_lo
	v_add_co_u32 v9, vcc_lo, s6, v5
	v_add_co_ci_u32_e32 v10, vcc_lo, s7, v6, vcc_lo
	global_load_u16 v11, v[7:8], off
	v_add_co_u32 v7, vcc_lo, s8, v5
	v_add_co_ci_u32_e32 v8, vcc_lo, s9, v6, vcc_lo
	global_load_u16 v12, v[9:10], off
	;; [unrolled: 3-line block ×3, first 2 shown]
	v_add_co_u32 v7, vcc_lo, s12, v5
	global_load_u16 v14, v[9:10], off
	v_add_co_ci_u32_e32 v8, vcc_lo, s13, v6, vcc_lo
	v_add_co_u32 v9, vcc_lo, s14, v5
	v_add_co_ci_u32_e32 v10, vcc_lo, s15, v6, vcc_lo
	global_load_u16 v15, v[7:8], off
	v_add_co_u32 v7, vcc_lo, s16, v5
	v_add_co_ci_u32_e32 v8, vcc_lo, s17, v6, vcc_lo
	global_load_u16 v9, v[9:10], off
	;; [unrolled: 3-line block ×3, first 2 shown]
	global_load_u16 v5, v[5:6], off
	s_waitcnt vmcnt(7)
	v_cvt_f32_f16_e32 v6, v11
	s_waitcnt vmcnt(6)
	v_cvt_f32_f16_e32 v8, v12
	s_delay_alu instid0(VALU_DEP_2) | instskip(SKIP_2) | instid1(VALU_DEP_2)
	v_add_f32_e32 v4, v4, v6
	s_waitcnt vmcnt(5)
	v_cvt_f32_f16_e32 v6, v13
	v_add_f32_e32 v4, v4, v8
	s_waitcnt vmcnt(4)
	v_cvt_f32_f16_e32 v8, v14
	s_delay_alu instid0(VALU_DEP_2) | instskip(SKIP_2) | instid1(VALU_DEP_2)
	v_add_f32_e32 v4, v4, v6
	s_waitcnt vmcnt(3)
	v_cvt_f32_f16_e32 v6, v15
	v_add_f32_e32 v4, v4, v8
	v_mul_lo_u32 v8, v3, s20
	v_mov_b32_e32 v3, 0
	s_waitcnt vmcnt(2)
	v_cvt_f32_f16_e32 v9, v9
	v_add_f32_e32 v4, v4, v6
	s_delay_alu instid0(VALU_DEP_4)
	v_add3_u32 v2, v2, v1, v8
	v_mov_b32_e32 v1, v3
	s_waitcnt vmcnt(1)
	v_cvt_f32_f16_e32 v6, v7
	v_add_f32_e32 v4, v4, v9
	s_waitcnt vmcnt(0)
	v_cvt_f32_f16_e32 v5, v5
	v_lshlrev_b64 v[2:3], 1, v[2:3]
	v_lshlrev_b64 v[0:1], 1, v[0:1]
	v_add_f32_e32 v4, v4, v6
	s_delay_alu instid0(VALU_DEP_3) | instskip(NEXT) | instid1(VALU_DEP_2)
	v_add_co_u32 v2, vcc_lo, s0, v2
	v_add_f32_e32 v4, v4, v5
	v_add_co_ci_u32_e32 v3, vcc_lo, s1, v3, vcc_lo
	s_delay_alu instid0(VALU_DEP_3) | instskip(NEXT) | instid1(VALU_DEP_3)
	v_add_co_u32 v0, vcc_lo, v2, v0
	v_cvt_f16_f32_e32 v4, v4
	s_delay_alu instid0(VALU_DEP_3)
	v_add_co_ci_u32_e32 v1, vcc_lo, v3, v1, vcc_lo
	global_store_b16 v[0:1], v4, off
.LBB90_5:
	s_nop 0
	s_sendmsg sendmsg(MSG_DEALLOC_VGPRS)
	s_endpgm
	.section	.rodata,"a",@progbits
	.p2align	6, 0x0
	.amdhsa_kernel _ZL19k_bin_bcast_unravelIXadL_ZL6op_addffEE6__halfS0_S0_JPKS0_S2_S2_S2_S2_S2_S2_S2_EEvPKT0_PKT1_PT2_15HIP_vector_typeIjLj3EESC_SC_jSC_SC_SC_SC_SC_SC_iiiiiiiiiiiDpT3_
		.amdhsa_group_segment_fixed_size 0
		.amdhsa_private_segment_fixed_size 0
		.amdhsa_kernarg_size 504
		.amdhsa_user_sgpr_count 15
		.amdhsa_user_sgpr_dispatch_ptr 0
		.amdhsa_user_sgpr_queue_ptr 0
		.amdhsa_user_sgpr_kernarg_segment_ptr 1
		.amdhsa_user_sgpr_dispatch_id 0
		.amdhsa_user_sgpr_private_segment_size 0
		.amdhsa_wavefront_size32 1
		.amdhsa_uses_dynamic_stack 0
		.amdhsa_enable_private_segment 0
		.amdhsa_system_sgpr_workgroup_id_x 1
		.amdhsa_system_sgpr_workgroup_id_y 0
		.amdhsa_system_sgpr_workgroup_id_z 0
		.amdhsa_system_sgpr_workgroup_info 0
		.amdhsa_system_vgpr_workitem_id 0
		.amdhsa_next_free_vgpr 16
		.amdhsa_next_free_sgpr 28
		.amdhsa_reserve_vcc 1
		.amdhsa_float_round_mode_32 0
		.amdhsa_float_round_mode_16_64 0
		.amdhsa_float_denorm_mode_32 3
		.amdhsa_float_denorm_mode_16_64 3
		.amdhsa_dx10_clamp 1
		.amdhsa_ieee_mode 1
		.amdhsa_fp16_overflow 0
		.amdhsa_workgroup_processor_mode 1
		.amdhsa_memory_ordered 1
		.amdhsa_forward_progress 0
		.amdhsa_shared_vgpr_count 0
		.amdhsa_exception_fp_ieee_invalid_op 0
		.amdhsa_exception_fp_denorm_src 0
		.amdhsa_exception_fp_ieee_div_zero 0
		.amdhsa_exception_fp_ieee_overflow 0
		.amdhsa_exception_fp_ieee_underflow 0
		.amdhsa_exception_fp_ieee_inexact 0
		.amdhsa_exception_int_div_zero 0
	.end_amdhsa_kernel
	.section	.text._ZL19k_bin_bcast_unravelIXadL_ZL6op_addffEE6__halfS0_S0_JPKS0_S2_S2_S2_S2_S2_S2_S2_EEvPKT0_PKT1_PT2_15HIP_vector_typeIjLj3EESC_SC_jSC_SC_SC_SC_SC_SC_iiiiiiiiiiiDpT3_,"axG",@progbits,_ZL19k_bin_bcast_unravelIXadL_ZL6op_addffEE6__halfS0_S0_JPKS0_S2_S2_S2_S2_S2_S2_S2_EEvPKT0_PKT1_PT2_15HIP_vector_typeIjLj3EESC_SC_jSC_SC_SC_SC_SC_SC_iiiiiiiiiiiDpT3_,comdat
.Lfunc_end90:
	.size	_ZL19k_bin_bcast_unravelIXadL_ZL6op_addffEE6__halfS0_S0_JPKS0_S2_S2_S2_S2_S2_S2_S2_EEvPKT0_PKT1_PT2_15HIP_vector_typeIjLj3EESC_SC_jSC_SC_SC_SC_SC_SC_iiiiiiiiiiiDpT3_, .Lfunc_end90-_ZL19k_bin_bcast_unravelIXadL_ZL6op_addffEE6__halfS0_S0_JPKS0_S2_S2_S2_S2_S2_S2_S2_EEvPKT0_PKT1_PT2_15HIP_vector_typeIjLj3EESC_SC_jSC_SC_SC_SC_SC_SC_iiiiiiiiiiiDpT3_
                                        ; -- End function
	.section	.AMDGPU.csdata,"",@progbits
; Kernel info:
; codeLenInByte = 1056
; NumSgprs: 30
; NumVgprs: 16
; ScratchSize: 0
; MemoryBound: 0
; FloatMode: 240
; IeeeMode: 1
; LDSByteSize: 0 bytes/workgroup (compile time only)
; SGPRBlocks: 3
; VGPRBlocks: 1
; NumSGPRsForWavesPerEU: 30
; NumVGPRsForWavesPerEU: 16
; Occupancy: 16
; WaveLimiterHint : 1
; COMPUTE_PGM_RSRC2:SCRATCH_EN: 0
; COMPUTE_PGM_RSRC2:USER_SGPR: 15
; COMPUTE_PGM_RSRC2:TRAP_HANDLER: 0
; COMPUTE_PGM_RSRC2:TGID_X_EN: 1
; COMPUTE_PGM_RSRC2:TGID_Y_EN: 0
; COMPUTE_PGM_RSRC2:TGID_Z_EN: 0
; COMPUTE_PGM_RSRC2:TIDIG_COMP_CNT: 0
	.section	.text._ZL11k_bin_bcastIXadL_ZL6op_addffEE6__halfS0_S0_JPKS0_S2_S2_S2_S2_S2_S2_S2_EEvPKT0_PKT1_PT2_iii15HIP_vector_typeIjLj3EESC_SC_SC_SC_iiiiiiiiiiiDpT3_,"axG",@progbits,_ZL11k_bin_bcastIXadL_ZL6op_addffEE6__halfS0_S0_JPKS0_S2_S2_S2_S2_S2_S2_S2_EEvPKT0_PKT1_PT2_iii15HIP_vector_typeIjLj3EESC_SC_SC_SC_iiiiiiiiiiiDpT3_,comdat
	.globl	_ZL11k_bin_bcastIXadL_ZL6op_addffEE6__halfS0_S0_JPKS0_S2_S2_S2_S2_S2_S2_S2_EEvPKT0_PKT1_PT2_iii15HIP_vector_typeIjLj3EESC_SC_SC_SC_iiiiiiiiiiiDpT3_ ; -- Begin function _ZL11k_bin_bcastIXadL_ZL6op_addffEE6__halfS0_S0_JPKS0_S2_S2_S2_S2_S2_S2_S2_EEvPKT0_PKT1_PT2_iii15HIP_vector_typeIjLj3EESC_SC_SC_SC_iiiiiiiiiiiDpT3_
	.p2align	8
	.type	_ZL11k_bin_bcastIXadL_ZL6op_addffEE6__halfS0_S0_JPKS0_S2_S2_S2_S2_S2_S2_S2_EEvPKT0_PKT1_PT2_iii15HIP_vector_typeIjLj3EESC_SC_SC_SC_iiiiiiiiiiiDpT3_,@function
_ZL11k_bin_bcastIXadL_ZL6op_addffEE6__halfS0_S0_JPKS0_S2_S2_S2_S2_S2_S2_S2_EEvPKT0_PKT1_PT2_iii15HIP_vector_typeIjLj3EESC_SC_SC_SC_iiiiiiiiiiiDpT3_: ; @_ZL11k_bin_bcastIXadL_ZL6op_addffEE6__halfS0_S0_JPKS0_S2_S2_S2_S2_S2_S2_S2_EEvPKT0_PKT1_PT2_iii15HIP_vector_typeIjLj3EESC_SC_SC_SC_iiiiiiiiiiiDpT3_
; %bb.0:
	s_clause 0x1
	s_load_b64 s[2:3], s[0:1], 0xdc
	s_load_b256 s[20:27], s[0:1], 0x18
	v_bfe_u32 v1, v0, 20, 10
	s_add_u32 s16, s0, 0xd0
	s_addc_u32 s17, s1, 0
	s_waitcnt lgkmcnt(0)
	s_and_b32 s3, s3, 0xffff
	s_delay_alu instid0(SALU_CYCLE_1) | instskip(SKIP_3) | instid1(VALU_DEP_3)
	v_mad_u64_u32 v[4:5], null, s15, s3, v[1:2]
	v_and_b32_e32 v2, 0x3ff, v0
	v_bfe_u32 v5, v0, 10, 10
	s_lshr_b32 s3, s2, 16
	v_mul_hi_u32 v1, v4, s23
	s_and_b32 s23, s2, 0xffff
	s_delay_alu instid0(VALU_DEP_1) | instskip(NEXT) | instid1(VALU_DEP_1)
	v_add_nc_u32_e32 v1, v4, v1
	v_lshrrev_b32_e32 v3, s24, v1
	s_delay_alu instid0(VALU_DEP_1) | instskip(SKIP_1) | instid1(VALU_DEP_2)
	v_mul_lo_u32 v6, v3, s25
	v_mad_u64_u32 v[0:1], null, s13, s23, v[2:3]
	v_mad_u64_u32 v[1:2], null, s14, s3, v[5:6]
	v_sub_nc_u32_e32 v4, v4, v6
	s_delay_alu instid0(VALU_DEP_3) | instskip(SKIP_1) | instid1(VALU_DEP_3)
	v_cmp_gt_u32_e32 vcc_lo, s20, v0
	v_cmp_gt_u32_e64 s3, s22, v3
	v_cmp_gt_u32_e64 s4, s25, v4
	;; [unrolled: 1-line block ×3, first 2 shown]
	s_delay_alu instid0(VALU_DEP_1)
	s_and_b32 s2, vcc_lo, s2
	s_delay_alu instid0(VALU_DEP_3) | instid1(SALU_CYCLE_1)
	s_and_b32 s2, s2, s3
	s_delay_alu instid0(VALU_DEP_2) | instid1(SALU_CYCLE_1)
	s_and_b32 s2, s2, s4
	s_delay_alu instid0(SALU_CYCLE_1)
	s_and_saveexec_b32 s3, s2
	s_cbranch_execz .LBB91_6
; %bb.1:
	v_cmp_gt_i32_e32 vcc_lo, s20, v0
	s_and_b32 exec_lo, exec_lo, vcc_lo
	s_cbranch_execz .LBB91_6
; %bb.2:
	s_clause 0x2
	s_load_b256 s[4:11], s[0:1], 0x3c
	s_load_b256 s[36:43], s[0:1], 0x60
	s_load_b128 s[28:31], s[0:1], 0x80
	s_load_b32 s21, s[16:17], 0x0
	s_clause 0x3
	s_load_b32 s12, s[0:1], 0x5c
	s_load_b64 s[2:3], s[0:1], 0x0
	s_load_b32 s22, s[0:1], 0x38
	s_load_b64 s[24:25], s[0:1], 0x10
	s_waitcnt lgkmcnt(0)
	v_mul_hi_u32 v2, s4, v1
	v_mul_hi_u32 v5, s7, v3
	;; [unrolled: 1-line block ×3, first 2 shown]
	v_mul_lo_u32 v9, v4, s42
	v_mul_lo_u32 v10, v3, s41
	;; [unrolled: 1-line block ×3, first 2 shown]
	v_mov_b32_e32 v6, 0
	v_mul_lo_u32 v12, v4, s38
	v_add_nc_u32_e32 v2, v1, v2
	v_add_nc_u32_e32 v5, v3, v5
	s_delay_alu instid0(VALU_DEP_4) | instskip(SKIP_1) | instid1(VALU_DEP_4)
	v_dual_mov_b32 v8, v6 :: v_dual_add_nc_u32 v7, v4, v7
	v_mul_lo_u32 v13, v3, s37
	v_lshrrev_b32_e32 v2, s5, v2
	s_delay_alu instid0(VALU_DEP_4) | instskip(NEXT) | instid1(VALU_DEP_4)
	v_lshrrev_b32_e32 v15, s8, v5
	v_lshrrev_b32_e32 v16, s11, v7
	v_add3_u32 v5, v10, v11, v9
	v_mul_lo_u32 v14, v1, s36
	v_mul_lo_u32 v9, v2, s6
	;; [unrolled: 1-line block ×4, first 2 shown]
	v_lshlrev_b64 v[5:6], 1, v[5:6]
	s_load_b512 s[4:19], s[0:1], 0x90
	s_cmp_lg_u64 s[2:3], 0
	v_mul_lo_u32 v2, s39, v0
	v_add3_u32 v7, v13, v14, v12
	v_sub_nc_u32_e32 v1, v1, v9
	v_sub_nc_u32_e32 v3, v3, v10
	;; [unrolled: 1-line block ×3, first 2 shown]
	v_add_co_u32 v9, vcc_lo, s2, v5
	v_add_co_ci_u32_e32 v5, vcc_lo, s3, v6, vcc_lo
	v_lshlrev_b64 v[7:8], 1, v[7:8]
	s_delay_alu instid0(VALU_DEP_4)
	v_mul_lo_u32 v10, v4, s30
	v_mul_lo_u32 v3, v3, s29
	;; [unrolled: 1-line block ×3, first 2 shown]
	s_cselect_b32 vcc_lo, -1, 0
	s_mul_i32 s2, s21, s23
	v_cndmask_b32_e32 v5, 0, v5, vcc_lo
	v_cndmask_b32_e32 v4, 0, v9, vcc_lo
	v_add_co_u32 v6, vcc_lo, s24, v7
	v_add_co_ci_u32_e32 v7, vcc_lo, s25, v8, vcc_lo
	s_delay_alu instid0(VALU_DEP_3)
	v_cmp_ne_u64_e32 vcc_lo, 0, v[4:5]
	v_add3_u32 v8, v3, v10, v1
	s_mov_b32 s3, 0
	s_mul_i32 s21, s2, s39
	s_sub_i32 s22, 0, s22
	s_branch .LBB91_4
.LBB91_3:                               ;   in Loop: Header=BB91_4 Depth=1
	s_or_b32 exec_lo, exec_lo, s1
	v_mul_hi_u32 v3, s26, v0
	v_add_nc_u32_e32 v2, s21, v2
	s_delay_alu instid0(VALU_DEP_2) | instskip(NEXT) | instid1(VALU_DEP_1)
	v_add_nc_u32_e32 v3, v0, v3
	v_lshrrev_b32_e32 v3, s27, v3
	s_delay_alu instid0(VALU_DEP_1) | instskip(NEXT) | instid1(VALU_DEP_1)
	v_mad_u64_u32 v[9:10], null, s22, v3, v[0:1]
	v_mul_lo_u32 v3, v9, s43
	s_delay_alu instid0(VALU_DEP_1) | instskip(NEXT) | instid1(VALU_DEP_1)
	v_add_co_u32 v9, s0, v3, v8
	v_add_co_ci_u32_e64 v10, null, 0, 0, s0
	s_delay_alu instid0(VALU_DEP_1) | instskip(SKIP_1) | instid1(VALU_DEP_1)
	v_lshlrev_b64 v[9:10], 1, v[9:10]
	s_waitcnt lgkmcnt(0)
	v_add_co_u32 v11, s0, s4, v9
	s_delay_alu instid0(VALU_DEP_1) | instskip(SKIP_1) | instid1(VALU_DEP_1)
	v_add_co_ci_u32_e64 v12, s0, s5, v10, s0
	v_add_co_u32 v13, s0, s6, v9
	v_add_co_ci_u32_e64 v14, s0, s7, v10, s0
	global_load_u16 v3, v[11:12], off
	v_add_co_u32 v11, s0, s8, v9
	s_delay_alu instid0(VALU_DEP_1) | instskip(SKIP_2) | instid1(VALU_DEP_1)
	v_add_co_ci_u32_e64 v12, s0, s9, v10, s0
	global_load_u16 v15, v[13:14], off
	v_add_co_u32 v13, s0, s10, v9
	v_add_co_ci_u32_e64 v14, s0, s11, v10, s0
	global_load_u16 v16, v[11:12], off
	v_add_co_u32 v11, s0, s12, v9
	s_delay_alu instid0(VALU_DEP_1) | instskip(SKIP_2) | instid1(VALU_DEP_1)
	v_add_co_ci_u32_e64 v12, s0, s13, v10, s0
	global_load_u16 v17, v[13:14], off
	;; [unrolled: 7-line block ×3, first 2 shown]
	v_add_co_u32 v9, s0, s18, v9
	v_add_co_ci_u32_e64 v10, s0, s19, v10, s0
	global_load_u16 v11, v[11:12], off
	global_load_u16 v9, v[9:10], off
	s_waitcnt vmcnt(7)
	v_cvt_f32_f16_e32 v3, v3
	s_waitcnt vmcnt(6)
	v_cvt_f32_f16_e32 v10, v15
	s_delay_alu instid0(VALU_DEP_2) | instskip(SKIP_2) | instid1(VALU_DEP_2)
	v_add_f32_e32 v1, v1, v3
	s_waitcnt vmcnt(5)
	v_cvt_f32_f16_e32 v3, v16
	v_add_f32_e32 v1, v1, v10
	s_waitcnt vmcnt(4)
	v_cvt_f32_f16_e32 v10, v17
	s_delay_alu instid0(VALU_DEP_2) | instskip(SKIP_2) | instid1(VALU_DEP_2)
	v_add_f32_e32 v1, v1, v3
	s_waitcnt vmcnt(3)
	v_cvt_f32_f16_e32 v3, v18
	v_add_f32_e32 v1, v1, v10
	s_waitcnt vmcnt(2)
	v_cvt_f32_f16_e32 v10, v13
	s_delay_alu instid0(VALU_DEP_2) | instskip(SKIP_2) | instid1(VALU_DEP_2)
	v_add_f32_e32 v1, v1, v3
	s_waitcnt vmcnt(1)
	v_cvt_f32_f16_e32 v3, v11
	v_add_f32_e32 v10, v1, v10
	v_ashrrev_i32_e32 v1, 31, v0
	s_waitcnt vmcnt(0)
	v_cvt_f32_f16_e32 v11, v9
	s_delay_alu instid0(VALU_DEP_3) | instskip(NEXT) | instid1(VALU_DEP_3)
	v_add_f32_e32 v3, v10, v3
	v_lshlrev_b64 v[9:10], 1, v[0:1]
	s_delay_alu instid0(VALU_DEP_2) | instskip(NEXT) | instid1(VALU_DEP_1)
	v_dual_add_f32 v1, v3, v11 :: v_dual_add_nc_u32 v0, s2, v0
	v_cmp_le_i32_e64 s0, s20, v0
	s_delay_alu instid0(VALU_DEP_3) | instskip(NEXT) | instid1(VALU_DEP_3)
	v_add_co_u32 v9, s1, v6, v9
	v_cvt_f16_f32_e32 v1, v1
	v_add_co_ci_u32_e64 v10, s1, v7, v10, s1
	s_delay_alu instid0(VALU_DEP_4)
	s_or_b32 s3, s0, s3
	global_store_b16 v[9:10], v1, off
	s_and_not1_b32 exec_lo, exec_lo, s3
	s_cbranch_execz .LBB91_6
.LBB91_4:                               ; =>This Inner Loop Header: Depth=1
	v_mov_b32_e32 v1, 0
	s_and_saveexec_b32 s1, vcc_lo
	s_cbranch_execz .LBB91_3
; %bb.5:                                ;   in Loop: Header=BB91_4 Depth=1
	v_ashrrev_i32_e32 v3, 31, v2
	s_delay_alu instid0(VALU_DEP_1) | instskip(NEXT) | instid1(VALU_DEP_1)
	v_lshlrev_b64 v[9:10], 1, v[2:3]
	v_add_co_u32 v9, s0, v4, v9
	s_delay_alu instid0(VALU_DEP_1)
	v_add_co_ci_u32_e64 v10, s0, v5, v10, s0
	global_load_u16 v1, v[9:10], off
	s_waitcnt vmcnt(0)
	v_cvt_f32_f16_e32 v1, v1
	s_branch .LBB91_3
.LBB91_6:
	s_nop 0
	s_sendmsg sendmsg(MSG_DEALLOC_VGPRS)
	s_endpgm
	.section	.rodata,"a",@progbits
	.p2align	6, 0x0
	.amdhsa_kernel _ZL11k_bin_bcastIXadL_ZL6op_addffEE6__halfS0_S0_JPKS0_S2_S2_S2_S2_S2_S2_S2_EEvPKT0_PKT1_PT2_iii15HIP_vector_typeIjLj3EESC_SC_SC_SC_iiiiiiiiiiiDpT3_
		.amdhsa_group_segment_fixed_size 0
		.amdhsa_private_segment_fixed_size 0
		.amdhsa_kernarg_size 464
		.amdhsa_user_sgpr_count 13
		.amdhsa_user_sgpr_dispatch_ptr 0
		.amdhsa_user_sgpr_queue_ptr 0
		.amdhsa_user_sgpr_kernarg_segment_ptr 1
		.amdhsa_user_sgpr_dispatch_id 0
		.amdhsa_user_sgpr_private_segment_size 0
		.amdhsa_wavefront_size32 1
		.amdhsa_uses_dynamic_stack 0
		.amdhsa_enable_private_segment 0
		.amdhsa_system_sgpr_workgroup_id_x 1
		.amdhsa_system_sgpr_workgroup_id_y 1
		.amdhsa_system_sgpr_workgroup_id_z 1
		.amdhsa_system_sgpr_workgroup_info 0
		.amdhsa_system_vgpr_workitem_id 2
		.amdhsa_next_free_vgpr 19
		.amdhsa_next_free_sgpr 44
		.amdhsa_reserve_vcc 1
		.amdhsa_float_round_mode_32 0
		.amdhsa_float_round_mode_16_64 0
		.amdhsa_float_denorm_mode_32 3
		.amdhsa_float_denorm_mode_16_64 3
		.amdhsa_dx10_clamp 1
		.amdhsa_ieee_mode 1
		.amdhsa_fp16_overflow 0
		.amdhsa_workgroup_processor_mode 1
		.amdhsa_memory_ordered 1
		.amdhsa_forward_progress 0
		.amdhsa_shared_vgpr_count 0
		.amdhsa_exception_fp_ieee_invalid_op 0
		.amdhsa_exception_fp_denorm_src 0
		.amdhsa_exception_fp_ieee_div_zero 0
		.amdhsa_exception_fp_ieee_overflow 0
		.amdhsa_exception_fp_ieee_underflow 0
		.amdhsa_exception_fp_ieee_inexact 0
		.amdhsa_exception_int_div_zero 0
	.end_amdhsa_kernel
	.section	.text._ZL11k_bin_bcastIXadL_ZL6op_addffEE6__halfS0_S0_JPKS0_S2_S2_S2_S2_S2_S2_S2_EEvPKT0_PKT1_PT2_iii15HIP_vector_typeIjLj3EESC_SC_SC_SC_iiiiiiiiiiiDpT3_,"axG",@progbits,_ZL11k_bin_bcastIXadL_ZL6op_addffEE6__halfS0_S0_JPKS0_S2_S2_S2_S2_S2_S2_S2_EEvPKT0_PKT1_PT2_iii15HIP_vector_typeIjLj3EESC_SC_SC_SC_iiiiiiiiiiiDpT3_,comdat
.Lfunc_end91:
	.size	_ZL11k_bin_bcastIXadL_ZL6op_addffEE6__halfS0_S0_JPKS0_S2_S2_S2_S2_S2_S2_S2_EEvPKT0_PKT1_PT2_iii15HIP_vector_typeIjLj3EESC_SC_SC_SC_iiiiiiiiiiiDpT3_, .Lfunc_end91-_ZL11k_bin_bcastIXadL_ZL6op_addffEE6__halfS0_S0_JPKS0_S2_S2_S2_S2_S2_S2_S2_EEvPKT0_PKT1_PT2_iii15HIP_vector_typeIjLj3EESC_SC_SC_SC_iiiiiiiiiiiDpT3_
                                        ; -- End function
	.section	.AMDGPU.csdata,"",@progbits
; Kernel info:
; codeLenInByte = 1160
; NumSgprs: 46
; NumVgprs: 19
; ScratchSize: 0
; MemoryBound: 0
; FloatMode: 240
; IeeeMode: 1
; LDSByteSize: 0 bytes/workgroup (compile time only)
; SGPRBlocks: 5
; VGPRBlocks: 2
; NumSGPRsForWavesPerEU: 46
; NumVGPRsForWavesPerEU: 19
; Occupancy: 16
; WaveLimiterHint : 1
; COMPUTE_PGM_RSRC2:SCRATCH_EN: 0
; COMPUTE_PGM_RSRC2:USER_SGPR: 13
; COMPUTE_PGM_RSRC2:TRAP_HANDLER: 0
; COMPUTE_PGM_RSRC2:TGID_X_EN: 1
; COMPUTE_PGM_RSRC2:TGID_Y_EN: 1
; COMPUTE_PGM_RSRC2:TGID_Z_EN: 1
; COMPUTE_PGM_RSRC2:TIDIG_COMP_CNT: 2
	.section	.text._ZL19k_bin_bcast_unravelIXadL_ZL6op_addffEE6__halffS0_JPKfS2_S2_S2_S2_S2_S2_S2_EEvPKT0_PKT1_PT2_15HIP_vector_typeIjLj3EESC_SC_jSC_SC_SC_SC_SC_SC_iiiiiiiiiiiDpT3_,"axG",@progbits,_ZL19k_bin_bcast_unravelIXadL_ZL6op_addffEE6__halffS0_JPKfS2_S2_S2_S2_S2_S2_S2_EEvPKT0_PKT1_PT2_15HIP_vector_typeIjLj3EESC_SC_jSC_SC_SC_SC_SC_SC_iiiiiiiiiiiDpT3_,comdat
	.globl	_ZL19k_bin_bcast_unravelIXadL_ZL6op_addffEE6__halffS0_JPKfS2_S2_S2_S2_S2_S2_S2_EEvPKT0_PKT1_PT2_15HIP_vector_typeIjLj3EESC_SC_jSC_SC_SC_SC_SC_SC_iiiiiiiiiiiDpT3_ ; -- Begin function _ZL19k_bin_bcast_unravelIXadL_ZL6op_addffEE6__halffS0_JPKfS2_S2_S2_S2_S2_S2_S2_EEvPKT0_PKT1_PT2_15HIP_vector_typeIjLj3EESC_SC_jSC_SC_SC_SC_SC_SC_iiiiiiiiiiiDpT3_
	.p2align	8
	.type	_ZL19k_bin_bcast_unravelIXadL_ZL6op_addffEE6__halffS0_JPKfS2_S2_S2_S2_S2_S2_S2_EEvPKT0_PKT1_PT2_15HIP_vector_typeIjLj3EESC_SC_jSC_SC_SC_SC_SC_SC_iiiiiiiiiiiDpT3_,@function
_ZL19k_bin_bcast_unravelIXadL_ZL6op_addffEE6__halffS0_JPKfS2_S2_S2_S2_S2_S2_S2_EEvPKT0_PKT1_PT2_15HIP_vector_typeIjLj3EESC_SC_jSC_SC_SC_SC_SC_SC_iiiiiiiiiiiDpT3_: ; @_ZL19k_bin_bcast_unravelIXadL_ZL6op_addffEE6__halffS0_JPKfS2_S2_S2_S2_S2_S2_S2_EEvPKT0_PKT1_PT2_15HIP_vector_typeIjLj3EESC_SC_jSC_SC_SC_SC_SC_SC_iiiiiiiiiiiDpT3_
; %bb.0:
	s_clause 0x1
	s_load_b32 s2, s[0:1], 0x104
	s_load_b256 s[4:11], s[0:1], 0x38
	s_waitcnt lgkmcnt(0)
	s_and_b32 s2, s2, 0xffff
	s_delay_alu instid0(SALU_CYCLE_1) | instskip(SKIP_3) | instid1(VALU_DEP_1)
	v_mad_u64_u32 v[2:3], null, s15, s2, v[0:1]
	s_clause 0x1
	s_load_b128 s[12:15], s[0:1], 0x18
	s_load_b32 s2, s[0:1], 0x2c
	v_mul_hi_u32 v0, v2, s6
	s_delay_alu instid0(VALU_DEP_1) | instskip(NEXT) | instid1(VALU_DEP_1)
	v_add_nc_u32_e32 v0, v2, v0
	v_lshrrev_b32_e32 v1, s7, v0
	s_delay_alu instid0(VALU_DEP_1) | instskip(NEXT) | instid1(VALU_DEP_1)
	v_mul_lo_u32 v0, v1, s8
	v_sub_nc_u32_e32 v0, v2, v0
	s_delay_alu instid0(VALU_DEP_1) | instskip(NEXT) | instid1(VALU_DEP_1)
	v_mul_hi_u32 v2, v0, s9
	v_add_nc_u32_e32 v2, v0, v2
	s_delay_alu instid0(VALU_DEP_1) | instskip(NEXT) | instid1(VALU_DEP_1)
	v_lshrrev_b32_e32 v2, s10, v2
	v_mul_lo_u32 v3, v2, s11
	v_cmp_gt_u32_e64 s3, s4, v2
	v_cmp_gt_u32_e64 s4, s5, v1
	s_delay_alu instid0(VALU_DEP_3) | instskip(SKIP_1) | instid1(VALU_DEP_1)
	v_sub_nc_u32_e32 v0, v0, v3
	s_waitcnt lgkmcnt(0)
	v_mul_hi_u32 v3, v0, s12
	s_delay_alu instid0(VALU_DEP_1) | instskip(NEXT) | instid1(VALU_DEP_1)
	v_add_nc_u32_e32 v3, v0, v3
	v_lshrrev_b32_e32 v3, s13, v3
	s_delay_alu instid0(VALU_DEP_1) | instskip(SKIP_1) | instid1(VALU_DEP_2)
	v_mul_lo_u32 v4, v3, s14
	v_cmp_gt_u32_e64 s2, s2, v3
	v_sub_nc_u32_e32 v0, v0, v4
	s_delay_alu instid0(VALU_DEP_1) | instskip(NEXT) | instid1(VALU_DEP_3)
	v_cmp_gt_u32_e32 vcc_lo, s14, v0
	s_and_b32 s2, vcc_lo, s2
	s_delay_alu instid0(SALU_CYCLE_1) | instskip(NEXT) | instid1(SALU_CYCLE_1)
	s_and_b32 s2, s2, s3
	s_and_b32 s2, s4, s2
	s_delay_alu instid0(SALU_CYCLE_1)
	s_and_saveexec_b32 s3, s2
	s_cbranch_execz .LBB92_5
; %bb.1:
	s_clause 0x4
	s_load_b64 s[2:3], s[0:1], 0x0
	s_load_b128 s[12:15], s[0:1], 0xa8
	s_load_b256 s[20:27], s[0:1], 0x88
	s_load_b128 s[16:19], s[0:1], 0x78
	s_load_b256 s[4:11], s[0:1], 0x58
	s_waitcnt lgkmcnt(0)
	s_cmp_eq_u64 s[2:3], 0
	s_cbranch_scc1 .LBB92_3
; %bb.2:
	v_mul_lo_u32 v4, v1, s26
	v_mul_lo_u32 v6, v2, s25
	;; [unrolled: 1-line block ×3, first 2 shown]
	v_mov_b32_e32 v5, 0
	s_delay_alu instid0(VALU_DEP_2) | instskip(NEXT) | instid1(VALU_DEP_1)
	v_add3_u32 v4, v6, v4, v7
	v_lshlrev_b64 v[6:7], 1, v[4:5]
	v_mul_lo_u32 v4, v0, s23
	s_delay_alu instid0(VALU_DEP_2) | instskip(NEXT) | instid1(VALU_DEP_3)
	v_add_co_u32 v6, vcc_lo, s2, v6
	v_add_co_ci_u32_e32 v7, vcc_lo, s3, v7, vcc_lo
	s_delay_alu instid0(VALU_DEP_3) | instskip(NEXT) | instid1(VALU_DEP_1)
	v_lshlrev_b64 v[4:5], 1, v[4:5]
	v_add_co_u32 v4, vcc_lo, v6, v4
	s_delay_alu instid0(VALU_DEP_2)
	v_add_co_ci_u32_e32 v5, vcc_lo, v7, v5, vcc_lo
	global_load_u16 v4, v[4:5], off
	s_waitcnt vmcnt(0)
	v_cvt_f32_f16_e32 v4, v4
	s_branch .LBB92_4
.LBB92_3:
	v_mov_b32_e32 v4, 0
.LBB92_4:
	v_mul_hi_u32 v5, s17, v1
	v_mul_hi_u32 v6, s10, v2
	;; [unrolled: 1-line block ×4, first 2 shown]
	s_delay_alu instid0(VALU_DEP_4) | instskip(NEXT) | instid1(VALU_DEP_4)
	v_add_nc_u32_e32 v5, v1, v5
	v_add_nc_u32_e32 v6, v2, v6
	s_delay_alu instid0(VALU_DEP_4) | instskip(NEXT) | instid1(VALU_DEP_4)
	v_add_nc_u32_e32 v7, v3, v7
	v_add_nc_u32_e32 v8, v0, v8
	s_delay_alu instid0(VALU_DEP_4) | instskip(NEXT) | instid1(VALU_DEP_4)
	v_lshrrev_b32_e32 v5, s18, v5
	v_lshrrev_b32_e32 v6, s11, v6
	s_delay_alu instid0(VALU_DEP_4) | instskip(NEXT) | instid1(VALU_DEP_4)
	v_lshrrev_b32_e32 v7, s8, v7
	v_lshrrev_b32_e32 v8, s5, v8
	s_delay_alu instid0(VALU_DEP_4) | instskip(NEXT) | instid1(VALU_DEP_4)
	v_mul_lo_u32 v5, v5, s19
	v_mul_lo_u32 v6, v6, s16
	s_delay_alu instid0(VALU_DEP_4) | instskip(NEXT) | instid1(VALU_DEP_4)
	v_mul_lo_u32 v7, v7, s9
	v_mul_lo_u32 v8, v8, s6
	s_delay_alu instid0(VALU_DEP_4) | instskip(NEXT) | instid1(VALU_DEP_4)
	v_sub_nc_u32_e32 v5, v1, v5
	v_sub_nc_u32_e32 v6, v2, v6
	s_delay_alu instid0(VALU_DEP_4) | instskip(NEXT) | instid1(VALU_DEP_4)
	v_sub_nc_u32_e32 v7, v3, v7
	v_sub_nc_u32_e32 v8, v0, v8
	v_mul_lo_u32 v1, v1, s22
	v_mul_lo_u32 v5, v5, s14
	;; [unrolled: 1-line block ×5, first 2 shown]
	s_clause 0x1
	s_load_b512 s[4:19], s[0:1], 0xb8
	s_load_b64 s[0:1], s[0:1], 0x10
	v_mul_lo_u32 v2, v2, s21
	s_delay_alu instid0(VALU_DEP_3) | instskip(NEXT) | instid1(VALU_DEP_3)
	v_add3_u32 v5, v6, v5, v7
	v_ashrrev_i32_e32 v6, 31, v8
	s_delay_alu instid0(VALU_DEP_2) | instskip(SKIP_1) | instid1(VALU_DEP_2)
	v_ashrrev_i32_e32 v7, 31, v5
	v_add_co_u32 v5, vcc_lo, v8, v5
	v_add_co_ci_u32_e32 v6, vcc_lo, v6, v7, vcc_lo
	s_delay_alu instid0(VALU_DEP_1) | instskip(SKIP_1) | instid1(VALU_DEP_1)
	v_lshlrev_b64 v[5:6], 2, v[5:6]
	s_waitcnt lgkmcnt(0)
	v_add_co_u32 v7, vcc_lo, s4, v5
	s_delay_alu instid0(VALU_DEP_2)
	v_add_co_ci_u32_e32 v8, vcc_lo, s5, v6, vcc_lo
	v_add_co_u32 v9, vcc_lo, s6, v5
	v_add_co_ci_u32_e32 v10, vcc_lo, s7, v6, vcc_lo
	global_load_b32 v11, v[7:8], off
	v_add_co_u32 v7, vcc_lo, s8, v5
	v_add_co_ci_u32_e32 v8, vcc_lo, s9, v6, vcc_lo
	global_load_b32 v12, v[9:10], off
	;; [unrolled: 3-line block ×7, first 2 shown]
	global_load_b32 v5, v[5:6], off
	v_mul_lo_u32 v6, v3, s20
	v_mov_b32_e32 v3, 0
	s_delay_alu instid0(VALU_DEP_2) | instskip(NEXT) | instid1(VALU_DEP_2)
	v_add3_u32 v2, v2, v1, v6
	v_mov_b32_e32 v1, v3
	s_delay_alu instid0(VALU_DEP_2) | instskip(NEXT) | instid1(VALU_DEP_2)
	v_lshlrev_b64 v[2:3], 1, v[2:3]
	v_lshlrev_b64 v[0:1], 1, v[0:1]
	s_delay_alu instid0(VALU_DEP_2) | instskip(NEXT) | instid1(VALU_DEP_3)
	v_add_co_u32 v2, vcc_lo, s0, v2
	v_add_co_ci_u32_e32 v3, vcc_lo, s1, v3, vcc_lo
	s_delay_alu instid0(VALU_DEP_2) | instskip(NEXT) | instid1(VALU_DEP_2)
	v_add_co_u32 v0, vcc_lo, v2, v0
	v_add_co_ci_u32_e32 v1, vcc_lo, v3, v1, vcc_lo
	s_waitcnt vmcnt(7)
	v_add_f32_e32 v4, v4, v11
	s_waitcnt vmcnt(6)
	s_delay_alu instid0(VALU_DEP_1) | instskip(SKIP_1) | instid1(VALU_DEP_1)
	v_add_f32_e32 v4, v4, v12
	s_waitcnt vmcnt(5)
	v_add_f32_e32 v4, v4, v13
	s_waitcnt vmcnt(4)
	s_delay_alu instid0(VALU_DEP_1) | instskip(SKIP_1) | instid1(VALU_DEP_1)
	v_add_f32_e32 v4, v4, v14
	;; [unrolled: 5-line block ×3, first 2 shown]
	s_waitcnt vmcnt(1)
	v_add_f32_e32 v4, v4, v7
	s_waitcnt vmcnt(0)
	s_delay_alu instid0(VALU_DEP_1) | instskip(NEXT) | instid1(VALU_DEP_1)
	v_add_f32_e32 v4, v4, v5
	v_cvt_f16_f32_e32 v4, v4
	global_store_b16 v[0:1], v4, off
.LBB92_5:
	s_nop 0
	s_sendmsg sendmsg(MSG_DEALLOC_VGPRS)
	s_endpgm
	.section	.rodata,"a",@progbits
	.p2align	6, 0x0
	.amdhsa_kernel _ZL19k_bin_bcast_unravelIXadL_ZL6op_addffEE6__halffS0_JPKfS2_S2_S2_S2_S2_S2_S2_EEvPKT0_PKT1_PT2_15HIP_vector_typeIjLj3EESC_SC_jSC_SC_SC_SC_SC_SC_iiiiiiiiiiiDpT3_
		.amdhsa_group_segment_fixed_size 0
		.amdhsa_private_segment_fixed_size 0
		.amdhsa_kernarg_size 504
		.amdhsa_user_sgpr_count 15
		.amdhsa_user_sgpr_dispatch_ptr 0
		.amdhsa_user_sgpr_queue_ptr 0
		.amdhsa_user_sgpr_kernarg_segment_ptr 1
		.amdhsa_user_sgpr_dispatch_id 0
		.amdhsa_user_sgpr_private_segment_size 0
		.amdhsa_wavefront_size32 1
		.amdhsa_uses_dynamic_stack 0
		.amdhsa_enable_private_segment 0
		.amdhsa_system_sgpr_workgroup_id_x 1
		.amdhsa_system_sgpr_workgroup_id_y 0
		.amdhsa_system_sgpr_workgroup_id_z 0
		.amdhsa_system_sgpr_workgroup_info 0
		.amdhsa_system_vgpr_workitem_id 0
		.amdhsa_next_free_vgpr 16
		.amdhsa_next_free_sgpr 28
		.amdhsa_reserve_vcc 1
		.amdhsa_float_round_mode_32 0
		.amdhsa_float_round_mode_16_64 0
		.amdhsa_float_denorm_mode_32 3
		.amdhsa_float_denorm_mode_16_64 3
		.amdhsa_dx10_clamp 1
		.amdhsa_ieee_mode 1
		.amdhsa_fp16_overflow 0
		.amdhsa_workgroup_processor_mode 1
		.amdhsa_memory_ordered 1
		.amdhsa_forward_progress 0
		.amdhsa_shared_vgpr_count 0
		.amdhsa_exception_fp_ieee_invalid_op 0
		.amdhsa_exception_fp_denorm_src 0
		.amdhsa_exception_fp_ieee_div_zero 0
		.amdhsa_exception_fp_ieee_overflow 0
		.amdhsa_exception_fp_ieee_underflow 0
		.amdhsa_exception_fp_ieee_inexact 0
		.amdhsa_exception_int_div_zero 0
	.end_amdhsa_kernel
	.section	.text._ZL19k_bin_bcast_unravelIXadL_ZL6op_addffEE6__halffS0_JPKfS2_S2_S2_S2_S2_S2_S2_EEvPKT0_PKT1_PT2_15HIP_vector_typeIjLj3EESC_SC_jSC_SC_SC_SC_SC_SC_iiiiiiiiiiiDpT3_,"axG",@progbits,_ZL19k_bin_bcast_unravelIXadL_ZL6op_addffEE6__halffS0_JPKfS2_S2_S2_S2_S2_S2_S2_EEvPKT0_PKT1_PT2_15HIP_vector_typeIjLj3EESC_SC_jSC_SC_SC_SC_SC_SC_iiiiiiiiiiiDpT3_,comdat
.Lfunc_end92:
	.size	_ZL19k_bin_bcast_unravelIXadL_ZL6op_addffEE6__halffS0_JPKfS2_S2_S2_S2_S2_S2_S2_EEvPKT0_PKT1_PT2_15HIP_vector_typeIjLj3EESC_SC_jSC_SC_SC_SC_SC_SC_iiiiiiiiiiiDpT3_, .Lfunc_end92-_ZL19k_bin_bcast_unravelIXadL_ZL6op_addffEE6__halffS0_JPKfS2_S2_S2_S2_S2_S2_S2_EEvPKT0_PKT1_PT2_15HIP_vector_typeIjLj3EESC_SC_jSC_SC_SC_SC_SC_SC_iiiiiiiiiiiDpT3_
                                        ; -- End function
	.section	.AMDGPU.csdata,"",@progbits
; Kernel info:
; codeLenInByte = 1032
; NumSgprs: 30
; NumVgprs: 16
; ScratchSize: 0
; MemoryBound: 0
; FloatMode: 240
; IeeeMode: 1
; LDSByteSize: 0 bytes/workgroup (compile time only)
; SGPRBlocks: 3
; VGPRBlocks: 1
; NumSGPRsForWavesPerEU: 30
; NumVGPRsForWavesPerEU: 16
; Occupancy: 16
; WaveLimiterHint : 1
; COMPUTE_PGM_RSRC2:SCRATCH_EN: 0
; COMPUTE_PGM_RSRC2:USER_SGPR: 15
; COMPUTE_PGM_RSRC2:TRAP_HANDLER: 0
; COMPUTE_PGM_RSRC2:TGID_X_EN: 1
; COMPUTE_PGM_RSRC2:TGID_Y_EN: 0
; COMPUTE_PGM_RSRC2:TGID_Z_EN: 0
; COMPUTE_PGM_RSRC2:TIDIG_COMP_CNT: 0
	.section	.text._ZL11k_bin_bcastIXadL_ZL6op_addffEE6__halffS0_JPKfS2_S2_S2_S2_S2_S2_S2_EEvPKT0_PKT1_PT2_iii15HIP_vector_typeIjLj3EESC_SC_SC_SC_iiiiiiiiiiiDpT3_,"axG",@progbits,_ZL11k_bin_bcastIXadL_ZL6op_addffEE6__halffS0_JPKfS2_S2_S2_S2_S2_S2_S2_EEvPKT0_PKT1_PT2_iii15HIP_vector_typeIjLj3EESC_SC_SC_SC_iiiiiiiiiiiDpT3_,comdat
	.globl	_ZL11k_bin_bcastIXadL_ZL6op_addffEE6__halffS0_JPKfS2_S2_S2_S2_S2_S2_S2_EEvPKT0_PKT1_PT2_iii15HIP_vector_typeIjLj3EESC_SC_SC_SC_iiiiiiiiiiiDpT3_ ; -- Begin function _ZL11k_bin_bcastIXadL_ZL6op_addffEE6__halffS0_JPKfS2_S2_S2_S2_S2_S2_S2_EEvPKT0_PKT1_PT2_iii15HIP_vector_typeIjLj3EESC_SC_SC_SC_iiiiiiiiiiiDpT3_
	.p2align	8
	.type	_ZL11k_bin_bcastIXadL_ZL6op_addffEE6__halffS0_JPKfS2_S2_S2_S2_S2_S2_S2_EEvPKT0_PKT1_PT2_iii15HIP_vector_typeIjLj3EESC_SC_SC_SC_iiiiiiiiiiiDpT3_,@function
_ZL11k_bin_bcastIXadL_ZL6op_addffEE6__halffS0_JPKfS2_S2_S2_S2_S2_S2_S2_EEvPKT0_PKT1_PT2_iii15HIP_vector_typeIjLj3EESC_SC_SC_SC_iiiiiiiiiiiDpT3_: ; @_ZL11k_bin_bcastIXadL_ZL6op_addffEE6__halffS0_JPKfS2_S2_S2_S2_S2_S2_S2_EEvPKT0_PKT1_PT2_iii15HIP_vector_typeIjLj3EESC_SC_SC_SC_iiiiiiiiiiiDpT3_
; %bb.0:
	s_clause 0x1
	s_load_b64 s[2:3], s[0:1], 0xdc
	s_load_b256 s[20:27], s[0:1], 0x18
	v_bfe_u32 v1, v0, 20, 10
	s_add_u32 s16, s0, 0xd0
	s_addc_u32 s17, s1, 0
	s_waitcnt lgkmcnt(0)
	s_and_b32 s3, s3, 0xffff
	s_delay_alu instid0(SALU_CYCLE_1) | instskip(SKIP_3) | instid1(VALU_DEP_3)
	v_mad_u64_u32 v[4:5], null, s15, s3, v[1:2]
	v_and_b32_e32 v2, 0x3ff, v0
	v_bfe_u32 v5, v0, 10, 10
	s_lshr_b32 s3, s2, 16
	v_mul_hi_u32 v1, v4, s23
	s_and_b32 s23, s2, 0xffff
	s_delay_alu instid0(VALU_DEP_1) | instskip(NEXT) | instid1(VALU_DEP_1)
	v_add_nc_u32_e32 v1, v4, v1
	v_lshrrev_b32_e32 v3, s24, v1
	s_delay_alu instid0(VALU_DEP_1) | instskip(SKIP_1) | instid1(VALU_DEP_2)
	v_mul_lo_u32 v6, v3, s25
	v_mad_u64_u32 v[0:1], null, s13, s23, v[2:3]
	v_mad_u64_u32 v[1:2], null, s14, s3, v[5:6]
	v_sub_nc_u32_e32 v4, v4, v6
	s_delay_alu instid0(VALU_DEP_3) | instskip(SKIP_1) | instid1(VALU_DEP_3)
	v_cmp_gt_u32_e32 vcc_lo, s20, v0
	v_cmp_gt_u32_e64 s3, s22, v3
	v_cmp_gt_u32_e64 s4, s25, v4
	v_cmp_gt_u32_e64 s2, s21, v1
	s_delay_alu instid0(VALU_DEP_1)
	s_and_b32 s2, vcc_lo, s2
	s_delay_alu instid0(VALU_DEP_3) | instid1(SALU_CYCLE_1)
	s_and_b32 s2, s2, s3
	s_delay_alu instid0(VALU_DEP_2) | instid1(SALU_CYCLE_1)
	s_and_b32 s2, s2, s4
	s_delay_alu instid0(SALU_CYCLE_1)
	s_and_saveexec_b32 s3, s2
	s_cbranch_execz .LBB93_6
; %bb.1:
	v_cmp_gt_i32_e32 vcc_lo, s20, v0
	s_and_b32 exec_lo, exec_lo, vcc_lo
	s_cbranch_execz .LBB93_6
; %bb.2:
	s_clause 0x2
	s_load_b256 s[4:11], s[0:1], 0x3c
	s_load_b256 s[36:43], s[0:1], 0x60
	s_load_b128 s[28:31], s[0:1], 0x80
	s_load_b32 s21, s[16:17], 0x0
	s_clause 0x3
	s_load_b32 s12, s[0:1], 0x5c
	s_load_b64 s[2:3], s[0:1], 0x0
	s_load_b32 s22, s[0:1], 0x38
	s_load_b64 s[24:25], s[0:1], 0x10
	s_waitcnt lgkmcnt(0)
	v_mul_hi_u32 v2, s4, v1
	v_mul_hi_u32 v5, s7, v3
	;; [unrolled: 1-line block ×3, first 2 shown]
	v_mul_lo_u32 v9, v4, s42
	v_mul_lo_u32 v10, v3, s41
	;; [unrolled: 1-line block ×3, first 2 shown]
	v_mov_b32_e32 v6, 0
	v_mul_lo_u32 v12, v4, s38
	v_add_nc_u32_e32 v2, v1, v2
	v_add_nc_u32_e32 v5, v3, v5
	s_delay_alu instid0(VALU_DEP_4) | instskip(SKIP_1) | instid1(VALU_DEP_4)
	v_dual_mov_b32 v8, v6 :: v_dual_add_nc_u32 v7, v4, v7
	v_mul_lo_u32 v13, v3, s37
	v_lshrrev_b32_e32 v2, s5, v2
	s_delay_alu instid0(VALU_DEP_4) | instskip(NEXT) | instid1(VALU_DEP_4)
	v_lshrrev_b32_e32 v15, s8, v5
	v_lshrrev_b32_e32 v16, s11, v7
	v_add3_u32 v5, v10, v11, v9
	v_mul_lo_u32 v14, v1, s36
	v_mul_lo_u32 v9, v2, s6
	;; [unrolled: 1-line block ×4, first 2 shown]
	v_lshlrev_b64 v[5:6], 1, v[5:6]
	s_load_b512 s[4:19], s[0:1], 0x90
	s_cmp_lg_u64 s[2:3], 0
	v_mul_lo_u32 v2, s39, v0
	v_add3_u32 v7, v13, v14, v12
	v_sub_nc_u32_e32 v1, v1, v9
	v_sub_nc_u32_e32 v3, v3, v10
	;; [unrolled: 1-line block ×3, first 2 shown]
	v_add_co_u32 v9, vcc_lo, s2, v5
	v_add_co_ci_u32_e32 v5, vcc_lo, s3, v6, vcc_lo
	v_lshlrev_b64 v[7:8], 1, v[7:8]
	s_delay_alu instid0(VALU_DEP_4)
	v_mul_lo_u32 v10, v4, s30
	v_mul_lo_u32 v3, v3, s29
	;; [unrolled: 1-line block ×3, first 2 shown]
	s_cselect_b32 vcc_lo, -1, 0
	s_mul_i32 s2, s21, s23
	v_cndmask_b32_e32 v5, 0, v5, vcc_lo
	v_cndmask_b32_e32 v4, 0, v9, vcc_lo
	v_add_co_u32 v6, vcc_lo, s24, v7
	v_add_co_ci_u32_e32 v7, vcc_lo, s25, v8, vcc_lo
	s_delay_alu instid0(VALU_DEP_3)
	v_cmp_ne_u64_e32 vcc_lo, 0, v[4:5]
	v_add3_u32 v8, v3, v10, v1
	s_mov_b32 s3, 0
	s_mul_i32 s21, s2, s39
	s_sub_i32 s22, 0, s22
	s_branch .LBB93_4
.LBB93_3:                               ;   in Loop: Header=BB93_4 Depth=1
	s_or_b32 exec_lo, exec_lo, s1
	v_mul_hi_u32 v3, s26, v0
	v_add_nc_u32_e32 v2, s21, v2
	s_delay_alu instid0(VALU_DEP_2) | instskip(NEXT) | instid1(VALU_DEP_1)
	v_add_nc_u32_e32 v3, v0, v3
	v_lshrrev_b32_e32 v3, s27, v3
	s_delay_alu instid0(VALU_DEP_1) | instskip(NEXT) | instid1(VALU_DEP_1)
	v_mad_u64_u32 v[9:10], null, s22, v3, v[0:1]
	v_mul_lo_u32 v3, v9, s43
	s_delay_alu instid0(VALU_DEP_1) | instskip(NEXT) | instid1(VALU_DEP_1)
	v_add_co_u32 v9, s0, v3, v8
	v_add_co_ci_u32_e64 v10, null, 0, 0, s0
	s_delay_alu instid0(VALU_DEP_1) | instskip(SKIP_1) | instid1(VALU_DEP_1)
	v_lshlrev_b64 v[9:10], 2, v[9:10]
	s_waitcnt lgkmcnt(0)
	v_add_co_u32 v11, s0, s4, v9
	s_delay_alu instid0(VALU_DEP_1) | instskip(SKIP_1) | instid1(VALU_DEP_1)
	v_add_co_ci_u32_e64 v12, s0, s5, v10, s0
	v_add_co_u32 v13, s0, s6, v9
	v_add_co_ci_u32_e64 v14, s0, s7, v10, s0
	global_load_b32 v3, v[11:12], off
	v_add_co_u32 v11, s0, s8, v9
	s_delay_alu instid0(VALU_DEP_1) | instskip(SKIP_2) | instid1(VALU_DEP_1)
	v_add_co_ci_u32_e64 v12, s0, s9, v10, s0
	global_load_b32 v15, v[13:14], off
	v_add_co_u32 v13, s0, s10, v9
	v_add_co_ci_u32_e64 v14, s0, s11, v10, s0
	global_load_b32 v16, v[11:12], off
	v_add_co_u32 v11, s0, s12, v9
	s_delay_alu instid0(VALU_DEP_1) | instskip(SKIP_2) | instid1(VALU_DEP_1)
	v_add_co_ci_u32_e64 v12, s0, s13, v10, s0
	global_load_b32 v17, v[13:14], off
	;; [unrolled: 7-line block ×3, first 2 shown]
	v_add_co_u32 v9, s0, s18, v9
	v_add_co_ci_u32_e64 v10, s0, s19, v10, s0
	global_load_b32 v11, v[11:12], off
	global_load_b32 v12, v[9:10], off
	s_waitcnt vmcnt(7)
	v_add_f32_e32 v1, v1, v3
	s_waitcnt vmcnt(6)
	s_delay_alu instid0(VALU_DEP_1) | instskip(SKIP_1) | instid1(VALU_DEP_1)
	v_add_f32_e32 v1, v1, v15
	s_waitcnt vmcnt(5)
	v_add_f32_e32 v1, v1, v16
	s_waitcnt vmcnt(4)
	s_delay_alu instid0(VALU_DEP_1) | instskip(SKIP_1) | instid1(VALU_DEP_1)
	v_add_f32_e32 v1, v1, v17
	s_waitcnt vmcnt(3)
	v_add_f32_e32 v1, v1, v18
	s_waitcnt vmcnt(2)
	s_delay_alu instid0(VALU_DEP_1) | instskip(SKIP_2) | instid1(VALU_DEP_2)
	v_add_f32_e32 v3, v1, v13
	v_ashrrev_i32_e32 v1, 31, v0
	s_waitcnt vmcnt(1)
	v_add_f32_e32 v3, v3, v11
	s_delay_alu instid0(VALU_DEP_2) | instskip(SKIP_2) | instid1(VALU_DEP_3)
	v_lshlrev_b64 v[9:10], 1, v[0:1]
	v_add_nc_u32_e32 v0, s2, v0
	s_waitcnt vmcnt(0)
	v_add_f32_e32 v1, v3, v12
	s_delay_alu instid0(VALU_DEP_2) | instskip(NEXT) | instid1(VALU_DEP_4)
	v_cmp_le_i32_e64 s0, s20, v0
	v_add_co_u32 v9, s1, v6, v9
	s_delay_alu instid0(VALU_DEP_3) | instskip(SKIP_1) | instid1(VALU_DEP_4)
	v_cvt_f16_f32_e32 v1, v1
	v_add_co_ci_u32_e64 v10, s1, v7, v10, s1
	s_or_b32 s3, s0, s3
	global_store_b16 v[9:10], v1, off
	s_and_not1_b32 exec_lo, exec_lo, s3
	s_cbranch_execz .LBB93_6
.LBB93_4:                               ; =>This Inner Loop Header: Depth=1
	v_mov_b32_e32 v1, 0
	s_and_saveexec_b32 s1, vcc_lo
	s_cbranch_execz .LBB93_3
; %bb.5:                                ;   in Loop: Header=BB93_4 Depth=1
	v_ashrrev_i32_e32 v3, 31, v2
	s_delay_alu instid0(VALU_DEP_1) | instskip(NEXT) | instid1(VALU_DEP_1)
	v_lshlrev_b64 v[9:10], 1, v[2:3]
	v_add_co_u32 v9, s0, v4, v9
	s_delay_alu instid0(VALU_DEP_1)
	v_add_co_ci_u32_e64 v10, s0, v5, v10, s0
	global_load_u16 v1, v[9:10], off
	s_waitcnt vmcnt(0)
	v_cvt_f32_f16_e32 v1, v1
	s_branch .LBB93_3
.LBB93_6:
	s_nop 0
	s_sendmsg sendmsg(MSG_DEALLOC_VGPRS)
	s_endpgm
	.section	.rodata,"a",@progbits
	.p2align	6, 0x0
	.amdhsa_kernel _ZL11k_bin_bcastIXadL_ZL6op_addffEE6__halffS0_JPKfS2_S2_S2_S2_S2_S2_S2_EEvPKT0_PKT1_PT2_iii15HIP_vector_typeIjLj3EESC_SC_SC_SC_iiiiiiiiiiiDpT3_
		.amdhsa_group_segment_fixed_size 0
		.amdhsa_private_segment_fixed_size 0
		.amdhsa_kernarg_size 464
		.amdhsa_user_sgpr_count 13
		.amdhsa_user_sgpr_dispatch_ptr 0
		.amdhsa_user_sgpr_queue_ptr 0
		.amdhsa_user_sgpr_kernarg_segment_ptr 1
		.amdhsa_user_sgpr_dispatch_id 0
		.amdhsa_user_sgpr_private_segment_size 0
		.amdhsa_wavefront_size32 1
		.amdhsa_uses_dynamic_stack 0
		.amdhsa_enable_private_segment 0
		.amdhsa_system_sgpr_workgroup_id_x 1
		.amdhsa_system_sgpr_workgroup_id_y 1
		.amdhsa_system_sgpr_workgroup_id_z 1
		.amdhsa_system_sgpr_workgroup_info 0
		.amdhsa_system_vgpr_workitem_id 2
		.amdhsa_next_free_vgpr 19
		.amdhsa_next_free_sgpr 44
		.amdhsa_reserve_vcc 1
		.amdhsa_float_round_mode_32 0
		.amdhsa_float_round_mode_16_64 0
		.amdhsa_float_denorm_mode_32 3
		.amdhsa_float_denorm_mode_16_64 3
		.amdhsa_dx10_clamp 1
		.amdhsa_ieee_mode 1
		.amdhsa_fp16_overflow 0
		.amdhsa_workgroup_processor_mode 1
		.amdhsa_memory_ordered 1
		.amdhsa_forward_progress 0
		.amdhsa_shared_vgpr_count 0
		.amdhsa_exception_fp_ieee_invalid_op 0
		.amdhsa_exception_fp_denorm_src 0
		.amdhsa_exception_fp_ieee_div_zero 0
		.amdhsa_exception_fp_ieee_overflow 0
		.amdhsa_exception_fp_ieee_underflow 0
		.amdhsa_exception_fp_ieee_inexact 0
		.amdhsa_exception_int_div_zero 0
	.end_amdhsa_kernel
	.section	.text._ZL11k_bin_bcastIXadL_ZL6op_addffEE6__halffS0_JPKfS2_S2_S2_S2_S2_S2_S2_EEvPKT0_PKT1_PT2_iii15HIP_vector_typeIjLj3EESC_SC_SC_SC_iiiiiiiiiiiDpT3_,"axG",@progbits,_ZL11k_bin_bcastIXadL_ZL6op_addffEE6__halffS0_JPKfS2_S2_S2_S2_S2_S2_S2_EEvPKT0_PKT1_PT2_iii15HIP_vector_typeIjLj3EESC_SC_SC_SC_iiiiiiiiiiiDpT3_,comdat
.Lfunc_end93:
	.size	_ZL11k_bin_bcastIXadL_ZL6op_addffEE6__halffS0_JPKfS2_S2_S2_S2_S2_S2_S2_EEvPKT0_PKT1_PT2_iii15HIP_vector_typeIjLj3EESC_SC_SC_SC_iiiiiiiiiiiDpT3_, .Lfunc_end93-_ZL11k_bin_bcastIXadL_ZL6op_addffEE6__halffS0_JPKfS2_S2_S2_S2_S2_S2_S2_EEvPKT0_PKT1_PT2_iii15HIP_vector_typeIjLj3EESC_SC_SC_SC_iiiiiiiiiiiDpT3_
                                        ; -- End function
	.section	.AMDGPU.csdata,"",@progbits
; Kernel info:
; codeLenInByte = 1124
; NumSgprs: 46
; NumVgprs: 19
; ScratchSize: 0
; MemoryBound: 0
; FloatMode: 240
; IeeeMode: 1
; LDSByteSize: 0 bytes/workgroup (compile time only)
; SGPRBlocks: 5
; VGPRBlocks: 2
; NumSGPRsForWavesPerEU: 46
; NumVGPRsForWavesPerEU: 19
; Occupancy: 16
; WaveLimiterHint : 1
; COMPUTE_PGM_RSRC2:SCRATCH_EN: 0
; COMPUTE_PGM_RSRC2:USER_SGPR: 13
; COMPUTE_PGM_RSRC2:TRAP_HANDLER: 0
; COMPUTE_PGM_RSRC2:TGID_X_EN: 1
; COMPUTE_PGM_RSRC2:TGID_Y_EN: 1
; COMPUTE_PGM_RSRC2:TGID_Z_EN: 1
; COMPUTE_PGM_RSRC2:TIDIG_COMP_CNT: 2
	.section	.text._ZL19k_bin_bcast_unravelIXadL_ZL6op_addffEE6__halfffJPKfS2_S2_S2_S2_S2_S2_S2_EEvPKT0_PKT1_PT2_15HIP_vector_typeIjLj3EESC_SC_jSC_SC_SC_SC_SC_SC_iiiiiiiiiiiDpT3_,"axG",@progbits,_ZL19k_bin_bcast_unravelIXadL_ZL6op_addffEE6__halfffJPKfS2_S2_S2_S2_S2_S2_S2_EEvPKT0_PKT1_PT2_15HIP_vector_typeIjLj3EESC_SC_jSC_SC_SC_SC_SC_SC_iiiiiiiiiiiDpT3_,comdat
	.globl	_ZL19k_bin_bcast_unravelIXadL_ZL6op_addffEE6__halfffJPKfS2_S2_S2_S2_S2_S2_S2_EEvPKT0_PKT1_PT2_15HIP_vector_typeIjLj3EESC_SC_jSC_SC_SC_SC_SC_SC_iiiiiiiiiiiDpT3_ ; -- Begin function _ZL19k_bin_bcast_unravelIXadL_ZL6op_addffEE6__halfffJPKfS2_S2_S2_S2_S2_S2_S2_EEvPKT0_PKT1_PT2_15HIP_vector_typeIjLj3EESC_SC_jSC_SC_SC_SC_SC_SC_iiiiiiiiiiiDpT3_
	.p2align	8
	.type	_ZL19k_bin_bcast_unravelIXadL_ZL6op_addffEE6__halfffJPKfS2_S2_S2_S2_S2_S2_S2_EEvPKT0_PKT1_PT2_15HIP_vector_typeIjLj3EESC_SC_jSC_SC_SC_SC_SC_SC_iiiiiiiiiiiDpT3_,@function
_ZL19k_bin_bcast_unravelIXadL_ZL6op_addffEE6__halfffJPKfS2_S2_S2_S2_S2_S2_S2_EEvPKT0_PKT1_PT2_15HIP_vector_typeIjLj3EESC_SC_jSC_SC_SC_SC_SC_SC_iiiiiiiiiiiDpT3_: ; @_ZL19k_bin_bcast_unravelIXadL_ZL6op_addffEE6__halfffJPKfS2_S2_S2_S2_S2_S2_S2_EEvPKT0_PKT1_PT2_15HIP_vector_typeIjLj3EESC_SC_jSC_SC_SC_SC_SC_SC_iiiiiiiiiiiDpT3_
; %bb.0:
	s_clause 0x1
	s_load_b32 s2, s[0:1], 0x104
	s_load_b256 s[4:11], s[0:1], 0x38
	s_waitcnt lgkmcnt(0)
	s_and_b32 s2, s2, 0xffff
	s_delay_alu instid0(SALU_CYCLE_1) | instskip(SKIP_3) | instid1(VALU_DEP_1)
	v_mad_u64_u32 v[2:3], null, s15, s2, v[0:1]
	s_clause 0x1
	s_load_b128 s[12:15], s[0:1], 0x18
	s_load_b32 s2, s[0:1], 0x2c
	v_mul_hi_u32 v0, v2, s6
	s_delay_alu instid0(VALU_DEP_1) | instskip(NEXT) | instid1(VALU_DEP_1)
	v_add_nc_u32_e32 v0, v2, v0
	v_lshrrev_b32_e32 v1, s7, v0
	s_delay_alu instid0(VALU_DEP_1) | instskip(NEXT) | instid1(VALU_DEP_1)
	v_mul_lo_u32 v0, v1, s8
	v_sub_nc_u32_e32 v0, v2, v0
	s_delay_alu instid0(VALU_DEP_1) | instskip(NEXT) | instid1(VALU_DEP_1)
	v_mul_hi_u32 v2, v0, s9
	v_add_nc_u32_e32 v2, v0, v2
	s_delay_alu instid0(VALU_DEP_1) | instskip(NEXT) | instid1(VALU_DEP_1)
	v_lshrrev_b32_e32 v2, s10, v2
	v_mul_lo_u32 v3, v2, s11
	v_cmp_gt_u32_e64 s3, s4, v2
	v_cmp_gt_u32_e64 s4, s5, v1
	s_delay_alu instid0(VALU_DEP_3) | instskip(SKIP_1) | instid1(VALU_DEP_1)
	v_sub_nc_u32_e32 v0, v0, v3
	s_waitcnt lgkmcnt(0)
	v_mul_hi_u32 v3, v0, s12
	s_delay_alu instid0(VALU_DEP_1) | instskip(NEXT) | instid1(VALU_DEP_1)
	v_add_nc_u32_e32 v3, v0, v3
	v_lshrrev_b32_e32 v3, s13, v3
	s_delay_alu instid0(VALU_DEP_1) | instskip(SKIP_1) | instid1(VALU_DEP_2)
	v_mul_lo_u32 v4, v3, s14
	v_cmp_gt_u32_e64 s2, s2, v3
	v_sub_nc_u32_e32 v0, v0, v4
	s_delay_alu instid0(VALU_DEP_1) | instskip(NEXT) | instid1(VALU_DEP_3)
	v_cmp_gt_u32_e32 vcc_lo, s14, v0
	s_and_b32 s2, vcc_lo, s2
	s_delay_alu instid0(SALU_CYCLE_1) | instskip(NEXT) | instid1(SALU_CYCLE_1)
	s_and_b32 s2, s2, s3
	s_and_b32 s2, s4, s2
	s_delay_alu instid0(SALU_CYCLE_1)
	s_and_saveexec_b32 s3, s2
	s_cbranch_execz .LBB94_5
; %bb.1:
	s_clause 0x4
	s_load_b64 s[2:3], s[0:1], 0x0
	s_load_b128 s[12:15], s[0:1], 0xa8
	s_load_b256 s[20:27], s[0:1], 0x88
	s_load_b128 s[16:19], s[0:1], 0x78
	s_load_b256 s[4:11], s[0:1], 0x58
	s_waitcnt lgkmcnt(0)
	s_cmp_eq_u64 s[2:3], 0
	s_cbranch_scc1 .LBB94_3
; %bb.2:
	v_mul_lo_u32 v4, v1, s26
	v_mul_lo_u32 v6, v2, s25
	v_mul_lo_u32 v7, v3, s24
	v_mov_b32_e32 v5, 0
	s_delay_alu instid0(VALU_DEP_2) | instskip(NEXT) | instid1(VALU_DEP_1)
	v_add3_u32 v4, v6, v4, v7
	v_lshlrev_b64 v[6:7], 1, v[4:5]
	v_mul_lo_u32 v4, v0, s23
	s_delay_alu instid0(VALU_DEP_2) | instskip(NEXT) | instid1(VALU_DEP_3)
	v_add_co_u32 v6, vcc_lo, s2, v6
	v_add_co_ci_u32_e32 v7, vcc_lo, s3, v7, vcc_lo
	s_delay_alu instid0(VALU_DEP_3) | instskip(NEXT) | instid1(VALU_DEP_1)
	v_lshlrev_b64 v[4:5], 1, v[4:5]
	v_add_co_u32 v4, vcc_lo, v6, v4
	s_delay_alu instid0(VALU_DEP_2)
	v_add_co_ci_u32_e32 v5, vcc_lo, v7, v5, vcc_lo
	global_load_u16 v4, v[4:5], off
	s_waitcnt vmcnt(0)
	v_cvt_f32_f16_e32 v4, v4
	s_branch .LBB94_4
.LBB94_3:
	v_mov_b32_e32 v4, 0
.LBB94_4:
	v_mul_hi_u32 v5, s17, v1
	v_mul_hi_u32 v6, s10, v2
	;; [unrolled: 1-line block ×4, first 2 shown]
	s_delay_alu instid0(VALU_DEP_4) | instskip(NEXT) | instid1(VALU_DEP_4)
	v_add_nc_u32_e32 v5, v1, v5
	v_add_nc_u32_e32 v6, v2, v6
	s_delay_alu instid0(VALU_DEP_4) | instskip(NEXT) | instid1(VALU_DEP_4)
	v_add_nc_u32_e32 v7, v3, v7
	v_add_nc_u32_e32 v8, v0, v8
	s_delay_alu instid0(VALU_DEP_4) | instskip(NEXT) | instid1(VALU_DEP_4)
	v_lshrrev_b32_e32 v5, s18, v5
	v_lshrrev_b32_e32 v6, s11, v6
	s_delay_alu instid0(VALU_DEP_4) | instskip(NEXT) | instid1(VALU_DEP_4)
	v_lshrrev_b32_e32 v7, s8, v7
	v_lshrrev_b32_e32 v8, s5, v8
	s_delay_alu instid0(VALU_DEP_4) | instskip(NEXT) | instid1(VALU_DEP_4)
	v_mul_lo_u32 v5, v5, s19
	v_mul_lo_u32 v6, v6, s16
	s_delay_alu instid0(VALU_DEP_4) | instskip(NEXT) | instid1(VALU_DEP_4)
	v_mul_lo_u32 v7, v7, s9
	v_mul_lo_u32 v8, v8, s6
	s_delay_alu instid0(VALU_DEP_4) | instskip(NEXT) | instid1(VALU_DEP_4)
	v_sub_nc_u32_e32 v5, v1, v5
	v_sub_nc_u32_e32 v6, v2, v6
	s_delay_alu instid0(VALU_DEP_4) | instskip(NEXT) | instid1(VALU_DEP_4)
	v_sub_nc_u32_e32 v7, v3, v7
	v_sub_nc_u32_e32 v8, v0, v8
	v_mul_lo_u32 v1, v1, s22
	v_mul_lo_u32 v5, v5, s14
	;; [unrolled: 1-line block ×5, first 2 shown]
	s_clause 0x1
	s_load_b512 s[4:19], s[0:1], 0xb8
	s_load_b64 s[0:1], s[0:1], 0x10
	v_mul_lo_u32 v2, v2, s21
	s_delay_alu instid0(VALU_DEP_3) | instskip(NEXT) | instid1(VALU_DEP_3)
	v_add3_u32 v5, v6, v5, v7
	v_ashrrev_i32_e32 v6, 31, v8
	s_delay_alu instid0(VALU_DEP_2) | instskip(SKIP_1) | instid1(VALU_DEP_2)
	v_ashrrev_i32_e32 v7, 31, v5
	v_add_co_u32 v5, vcc_lo, v8, v5
	v_add_co_ci_u32_e32 v6, vcc_lo, v6, v7, vcc_lo
	s_delay_alu instid0(VALU_DEP_1) | instskip(SKIP_1) | instid1(VALU_DEP_1)
	v_lshlrev_b64 v[5:6], 2, v[5:6]
	s_waitcnt lgkmcnt(0)
	v_add_co_u32 v7, vcc_lo, s4, v5
	s_delay_alu instid0(VALU_DEP_2)
	v_add_co_ci_u32_e32 v8, vcc_lo, s5, v6, vcc_lo
	v_add_co_u32 v9, vcc_lo, s6, v5
	v_add_co_ci_u32_e32 v10, vcc_lo, s7, v6, vcc_lo
	global_load_b32 v11, v[7:8], off
	v_add_co_u32 v7, vcc_lo, s8, v5
	v_add_co_ci_u32_e32 v8, vcc_lo, s9, v6, vcc_lo
	global_load_b32 v12, v[9:10], off
	v_add_co_u32 v9, vcc_lo, s10, v5
	v_add_co_ci_u32_e32 v10, vcc_lo, s11, v6, vcc_lo
	global_load_b32 v13, v[7:8], off
	v_add_co_u32 v7, vcc_lo, s12, v5
	v_add_co_ci_u32_e32 v8, vcc_lo, s13, v6, vcc_lo
	global_load_b32 v14, v[9:10], off
	v_add_co_u32 v9, vcc_lo, s14, v5
	v_add_co_ci_u32_e32 v10, vcc_lo, s15, v6, vcc_lo
	global_load_b32 v15, v[7:8], off
	v_add_co_u32 v7, vcc_lo, s16, v5
	v_add_co_ci_u32_e32 v8, vcc_lo, s17, v6, vcc_lo
	global_load_b32 v9, v[9:10], off
	v_add_co_u32 v5, vcc_lo, s18, v5
	v_add_co_ci_u32_e32 v6, vcc_lo, s19, v6, vcc_lo
	global_load_b32 v7, v[7:8], off
	global_load_b32 v5, v[5:6], off
	v_mul_lo_u32 v6, v3, s20
	v_mov_b32_e32 v3, 0
	s_delay_alu instid0(VALU_DEP_2) | instskip(NEXT) | instid1(VALU_DEP_2)
	v_add3_u32 v2, v2, v1, v6
	v_mov_b32_e32 v1, v3
	s_delay_alu instid0(VALU_DEP_2) | instskip(NEXT) | instid1(VALU_DEP_2)
	v_lshlrev_b64 v[2:3], 2, v[2:3]
	v_lshlrev_b64 v[0:1], 2, v[0:1]
	s_delay_alu instid0(VALU_DEP_2) | instskip(NEXT) | instid1(VALU_DEP_3)
	v_add_co_u32 v2, vcc_lo, s0, v2
	v_add_co_ci_u32_e32 v3, vcc_lo, s1, v3, vcc_lo
	s_delay_alu instid0(VALU_DEP_2) | instskip(NEXT) | instid1(VALU_DEP_2)
	v_add_co_u32 v0, vcc_lo, v2, v0
	v_add_co_ci_u32_e32 v1, vcc_lo, v3, v1, vcc_lo
	s_waitcnt vmcnt(7)
	v_add_f32_e32 v4, v4, v11
	s_waitcnt vmcnt(6)
	s_delay_alu instid0(VALU_DEP_1) | instskip(SKIP_1) | instid1(VALU_DEP_1)
	v_add_f32_e32 v4, v4, v12
	s_waitcnt vmcnt(5)
	v_add_f32_e32 v4, v4, v13
	s_waitcnt vmcnt(4)
	s_delay_alu instid0(VALU_DEP_1) | instskip(SKIP_1) | instid1(VALU_DEP_1)
	v_add_f32_e32 v4, v4, v14
	s_waitcnt vmcnt(3)
	v_add_f32_e32 v4, v4, v15
	s_waitcnt vmcnt(2)
	s_delay_alu instid0(VALU_DEP_1) | instskip(SKIP_1) | instid1(VALU_DEP_1)
	v_add_f32_e32 v4, v4, v9
	s_waitcnt vmcnt(1)
	v_add_f32_e32 v4, v4, v7
	s_waitcnt vmcnt(0)
	s_delay_alu instid0(VALU_DEP_1)
	v_add_f32_e32 v4, v4, v5
	global_store_b32 v[0:1], v4, off
.LBB94_5:
	s_nop 0
	s_sendmsg sendmsg(MSG_DEALLOC_VGPRS)
	s_endpgm
	.section	.rodata,"a",@progbits
	.p2align	6, 0x0
	.amdhsa_kernel _ZL19k_bin_bcast_unravelIXadL_ZL6op_addffEE6__halfffJPKfS2_S2_S2_S2_S2_S2_S2_EEvPKT0_PKT1_PT2_15HIP_vector_typeIjLj3EESC_SC_jSC_SC_SC_SC_SC_SC_iiiiiiiiiiiDpT3_
		.amdhsa_group_segment_fixed_size 0
		.amdhsa_private_segment_fixed_size 0
		.amdhsa_kernarg_size 504
		.amdhsa_user_sgpr_count 15
		.amdhsa_user_sgpr_dispatch_ptr 0
		.amdhsa_user_sgpr_queue_ptr 0
		.amdhsa_user_sgpr_kernarg_segment_ptr 1
		.amdhsa_user_sgpr_dispatch_id 0
		.amdhsa_user_sgpr_private_segment_size 0
		.amdhsa_wavefront_size32 1
		.amdhsa_uses_dynamic_stack 0
		.amdhsa_enable_private_segment 0
		.amdhsa_system_sgpr_workgroup_id_x 1
		.amdhsa_system_sgpr_workgroup_id_y 0
		.amdhsa_system_sgpr_workgroup_id_z 0
		.amdhsa_system_sgpr_workgroup_info 0
		.amdhsa_system_vgpr_workitem_id 0
		.amdhsa_next_free_vgpr 16
		.amdhsa_next_free_sgpr 28
		.amdhsa_reserve_vcc 1
		.amdhsa_float_round_mode_32 0
		.amdhsa_float_round_mode_16_64 0
		.amdhsa_float_denorm_mode_32 3
		.amdhsa_float_denorm_mode_16_64 3
		.amdhsa_dx10_clamp 1
		.amdhsa_ieee_mode 1
		.amdhsa_fp16_overflow 0
		.amdhsa_workgroup_processor_mode 1
		.amdhsa_memory_ordered 1
		.amdhsa_forward_progress 0
		.amdhsa_shared_vgpr_count 0
		.amdhsa_exception_fp_ieee_invalid_op 0
		.amdhsa_exception_fp_denorm_src 0
		.amdhsa_exception_fp_ieee_div_zero 0
		.amdhsa_exception_fp_ieee_overflow 0
		.amdhsa_exception_fp_ieee_underflow 0
		.amdhsa_exception_fp_ieee_inexact 0
		.amdhsa_exception_int_div_zero 0
	.end_amdhsa_kernel
	.section	.text._ZL19k_bin_bcast_unravelIXadL_ZL6op_addffEE6__halfffJPKfS2_S2_S2_S2_S2_S2_S2_EEvPKT0_PKT1_PT2_15HIP_vector_typeIjLj3EESC_SC_jSC_SC_SC_SC_SC_SC_iiiiiiiiiiiDpT3_,"axG",@progbits,_ZL19k_bin_bcast_unravelIXadL_ZL6op_addffEE6__halfffJPKfS2_S2_S2_S2_S2_S2_S2_EEvPKT0_PKT1_PT2_15HIP_vector_typeIjLj3EESC_SC_jSC_SC_SC_SC_SC_SC_iiiiiiiiiiiDpT3_,comdat
.Lfunc_end94:
	.size	_ZL19k_bin_bcast_unravelIXadL_ZL6op_addffEE6__halfffJPKfS2_S2_S2_S2_S2_S2_S2_EEvPKT0_PKT1_PT2_15HIP_vector_typeIjLj3EESC_SC_jSC_SC_SC_SC_SC_SC_iiiiiiiiiiiDpT3_, .Lfunc_end94-_ZL19k_bin_bcast_unravelIXadL_ZL6op_addffEE6__halfffJPKfS2_S2_S2_S2_S2_S2_S2_EEvPKT0_PKT1_PT2_15HIP_vector_typeIjLj3EESC_SC_jSC_SC_SC_SC_SC_SC_iiiiiiiiiiiDpT3_
                                        ; -- End function
	.section	.AMDGPU.csdata,"",@progbits
; Kernel info:
; codeLenInByte = 1028
; NumSgprs: 30
; NumVgprs: 16
; ScratchSize: 0
; MemoryBound: 0
; FloatMode: 240
; IeeeMode: 1
; LDSByteSize: 0 bytes/workgroup (compile time only)
; SGPRBlocks: 3
; VGPRBlocks: 1
; NumSGPRsForWavesPerEU: 30
; NumVGPRsForWavesPerEU: 16
; Occupancy: 16
; WaveLimiterHint : 1
; COMPUTE_PGM_RSRC2:SCRATCH_EN: 0
; COMPUTE_PGM_RSRC2:USER_SGPR: 15
; COMPUTE_PGM_RSRC2:TRAP_HANDLER: 0
; COMPUTE_PGM_RSRC2:TGID_X_EN: 1
; COMPUTE_PGM_RSRC2:TGID_Y_EN: 0
; COMPUTE_PGM_RSRC2:TGID_Z_EN: 0
; COMPUTE_PGM_RSRC2:TIDIG_COMP_CNT: 0
	.section	.text._ZL11k_bin_bcastIXadL_ZL6op_addffEE6__halfffJPKfS2_S2_S2_S2_S2_S2_S2_EEvPKT0_PKT1_PT2_iii15HIP_vector_typeIjLj3EESC_SC_SC_SC_iiiiiiiiiiiDpT3_,"axG",@progbits,_ZL11k_bin_bcastIXadL_ZL6op_addffEE6__halfffJPKfS2_S2_S2_S2_S2_S2_S2_EEvPKT0_PKT1_PT2_iii15HIP_vector_typeIjLj3EESC_SC_SC_SC_iiiiiiiiiiiDpT3_,comdat
	.globl	_ZL11k_bin_bcastIXadL_ZL6op_addffEE6__halfffJPKfS2_S2_S2_S2_S2_S2_S2_EEvPKT0_PKT1_PT2_iii15HIP_vector_typeIjLj3EESC_SC_SC_SC_iiiiiiiiiiiDpT3_ ; -- Begin function _ZL11k_bin_bcastIXadL_ZL6op_addffEE6__halfffJPKfS2_S2_S2_S2_S2_S2_S2_EEvPKT0_PKT1_PT2_iii15HIP_vector_typeIjLj3EESC_SC_SC_SC_iiiiiiiiiiiDpT3_
	.p2align	8
	.type	_ZL11k_bin_bcastIXadL_ZL6op_addffEE6__halfffJPKfS2_S2_S2_S2_S2_S2_S2_EEvPKT0_PKT1_PT2_iii15HIP_vector_typeIjLj3EESC_SC_SC_SC_iiiiiiiiiiiDpT3_,@function
_ZL11k_bin_bcastIXadL_ZL6op_addffEE6__halfffJPKfS2_S2_S2_S2_S2_S2_S2_EEvPKT0_PKT1_PT2_iii15HIP_vector_typeIjLj3EESC_SC_SC_SC_iiiiiiiiiiiDpT3_: ; @_ZL11k_bin_bcastIXadL_ZL6op_addffEE6__halfffJPKfS2_S2_S2_S2_S2_S2_S2_EEvPKT0_PKT1_PT2_iii15HIP_vector_typeIjLj3EESC_SC_SC_SC_iiiiiiiiiiiDpT3_
; %bb.0:
	s_clause 0x1
	s_load_b64 s[2:3], s[0:1], 0xdc
	s_load_b256 s[20:27], s[0:1], 0x18
	v_bfe_u32 v1, v0, 20, 10
	s_add_u32 s16, s0, 0xd0
	s_addc_u32 s17, s1, 0
	s_waitcnt lgkmcnt(0)
	s_and_b32 s3, s3, 0xffff
	s_delay_alu instid0(SALU_CYCLE_1) | instskip(SKIP_3) | instid1(VALU_DEP_3)
	v_mad_u64_u32 v[4:5], null, s15, s3, v[1:2]
	v_and_b32_e32 v2, 0x3ff, v0
	v_bfe_u32 v5, v0, 10, 10
	s_lshr_b32 s3, s2, 16
	v_mul_hi_u32 v1, v4, s23
	s_and_b32 s23, s2, 0xffff
	s_delay_alu instid0(VALU_DEP_1) | instskip(NEXT) | instid1(VALU_DEP_1)
	v_add_nc_u32_e32 v1, v4, v1
	v_lshrrev_b32_e32 v3, s24, v1
	s_delay_alu instid0(VALU_DEP_1) | instskip(SKIP_1) | instid1(VALU_DEP_2)
	v_mul_lo_u32 v6, v3, s25
	v_mad_u64_u32 v[0:1], null, s13, s23, v[2:3]
	v_mad_u64_u32 v[1:2], null, s14, s3, v[5:6]
	v_sub_nc_u32_e32 v4, v4, v6
	s_delay_alu instid0(VALU_DEP_3) | instskip(SKIP_1) | instid1(VALU_DEP_3)
	v_cmp_gt_u32_e32 vcc_lo, s20, v0
	v_cmp_gt_u32_e64 s3, s22, v3
	v_cmp_gt_u32_e64 s4, s25, v4
	;; [unrolled: 1-line block ×3, first 2 shown]
	s_delay_alu instid0(VALU_DEP_1)
	s_and_b32 s2, vcc_lo, s2
	s_delay_alu instid0(VALU_DEP_3) | instid1(SALU_CYCLE_1)
	s_and_b32 s2, s2, s3
	s_delay_alu instid0(VALU_DEP_2) | instid1(SALU_CYCLE_1)
	s_and_b32 s2, s2, s4
	s_delay_alu instid0(SALU_CYCLE_1)
	s_and_saveexec_b32 s3, s2
	s_cbranch_execz .LBB95_6
; %bb.1:
	v_cmp_gt_i32_e32 vcc_lo, s20, v0
	s_and_b32 exec_lo, exec_lo, vcc_lo
	s_cbranch_execz .LBB95_6
; %bb.2:
	s_clause 0x2
	s_load_b256 s[4:11], s[0:1], 0x3c
	s_load_b256 s[36:43], s[0:1], 0x60
	s_load_b128 s[28:31], s[0:1], 0x80
	s_load_b32 s21, s[16:17], 0x0
	s_clause 0x3
	s_load_b32 s12, s[0:1], 0x5c
	s_load_b64 s[2:3], s[0:1], 0x0
	s_load_b32 s22, s[0:1], 0x38
	s_load_b64 s[24:25], s[0:1], 0x10
	s_waitcnt lgkmcnt(0)
	v_mul_hi_u32 v2, s4, v1
	v_mul_hi_u32 v5, s7, v3
	v_mul_hi_u32 v7, s10, v4
	v_mul_lo_u32 v9, v4, s42
	v_mul_lo_u32 v10, v3, s41
	;; [unrolled: 1-line block ×3, first 2 shown]
	v_mov_b32_e32 v6, 0
	v_mul_lo_u32 v12, v4, s38
	v_add_nc_u32_e32 v2, v1, v2
	v_add_nc_u32_e32 v5, v3, v5
	s_delay_alu instid0(VALU_DEP_4) | instskip(SKIP_1) | instid1(VALU_DEP_4)
	v_dual_mov_b32 v8, v6 :: v_dual_add_nc_u32 v7, v4, v7
	v_mul_lo_u32 v13, v3, s37
	v_lshrrev_b32_e32 v2, s5, v2
	s_delay_alu instid0(VALU_DEP_4) | instskip(NEXT) | instid1(VALU_DEP_4)
	v_lshrrev_b32_e32 v15, s8, v5
	v_lshrrev_b32_e32 v16, s11, v7
	v_add3_u32 v5, v10, v11, v9
	v_mul_lo_u32 v14, v1, s36
	v_mul_lo_u32 v9, v2, s6
	;; [unrolled: 1-line block ×4, first 2 shown]
	v_lshlrev_b64 v[5:6], 1, v[5:6]
	s_load_b512 s[4:19], s[0:1], 0x90
	s_cmp_lg_u64 s[2:3], 0
	v_mul_lo_u32 v2, s39, v0
	v_add3_u32 v7, v13, v14, v12
	v_sub_nc_u32_e32 v1, v1, v9
	v_sub_nc_u32_e32 v3, v3, v10
	;; [unrolled: 1-line block ×3, first 2 shown]
	v_add_co_u32 v9, vcc_lo, s2, v5
	v_add_co_ci_u32_e32 v5, vcc_lo, s3, v6, vcc_lo
	v_lshlrev_b64 v[7:8], 2, v[7:8]
	s_delay_alu instid0(VALU_DEP_4)
	v_mul_lo_u32 v10, v4, s30
	v_mul_lo_u32 v3, v3, s29
	;; [unrolled: 1-line block ×3, first 2 shown]
	s_cselect_b32 vcc_lo, -1, 0
	s_mul_i32 s2, s21, s23
	v_cndmask_b32_e32 v5, 0, v5, vcc_lo
	v_cndmask_b32_e32 v4, 0, v9, vcc_lo
	v_add_co_u32 v6, vcc_lo, s24, v7
	v_add_co_ci_u32_e32 v7, vcc_lo, s25, v8, vcc_lo
	s_delay_alu instid0(VALU_DEP_3)
	v_cmp_ne_u64_e32 vcc_lo, 0, v[4:5]
	v_add3_u32 v8, v3, v10, v1
	s_mov_b32 s3, 0
	s_mul_i32 s21, s2, s39
	s_sub_i32 s22, 0, s22
	s_branch .LBB95_4
.LBB95_3:                               ;   in Loop: Header=BB95_4 Depth=1
	s_or_b32 exec_lo, exec_lo, s1
	v_mul_hi_u32 v3, s26, v0
	v_add_nc_u32_e32 v2, s21, v2
	s_delay_alu instid0(VALU_DEP_2) | instskip(NEXT) | instid1(VALU_DEP_1)
	v_add_nc_u32_e32 v3, v0, v3
	v_lshrrev_b32_e32 v3, s27, v3
	s_delay_alu instid0(VALU_DEP_1) | instskip(NEXT) | instid1(VALU_DEP_1)
	v_mad_u64_u32 v[9:10], null, s22, v3, v[0:1]
	v_mul_lo_u32 v3, v9, s43
	s_delay_alu instid0(VALU_DEP_1) | instskip(NEXT) | instid1(VALU_DEP_1)
	v_add_co_u32 v9, s0, v3, v8
	v_add_co_ci_u32_e64 v10, null, 0, 0, s0
	s_delay_alu instid0(VALU_DEP_1) | instskip(SKIP_1) | instid1(VALU_DEP_1)
	v_lshlrev_b64 v[9:10], 2, v[9:10]
	s_waitcnt lgkmcnt(0)
	v_add_co_u32 v11, s0, s4, v9
	s_delay_alu instid0(VALU_DEP_1) | instskip(SKIP_1) | instid1(VALU_DEP_1)
	v_add_co_ci_u32_e64 v12, s0, s5, v10, s0
	v_add_co_u32 v13, s0, s6, v9
	v_add_co_ci_u32_e64 v14, s0, s7, v10, s0
	global_load_b32 v3, v[11:12], off
	v_add_co_u32 v11, s0, s8, v9
	s_delay_alu instid0(VALU_DEP_1) | instskip(SKIP_2) | instid1(VALU_DEP_1)
	v_add_co_ci_u32_e64 v12, s0, s9, v10, s0
	global_load_b32 v15, v[13:14], off
	v_add_co_u32 v13, s0, s10, v9
	v_add_co_ci_u32_e64 v14, s0, s11, v10, s0
	global_load_b32 v16, v[11:12], off
	v_add_co_u32 v11, s0, s12, v9
	s_delay_alu instid0(VALU_DEP_1) | instskip(SKIP_2) | instid1(VALU_DEP_1)
	v_add_co_ci_u32_e64 v12, s0, s13, v10, s0
	global_load_b32 v17, v[13:14], off
	v_add_co_u32 v13, s0, s14, v9
	v_add_co_ci_u32_e64 v14, s0, s15, v10, s0
	global_load_b32 v18, v[11:12], off
	v_add_co_u32 v11, s0, s16, v9
	s_delay_alu instid0(VALU_DEP_1) | instskip(SKIP_2) | instid1(VALU_DEP_1)
	v_add_co_ci_u32_e64 v12, s0, s17, v10, s0
	global_load_b32 v13, v[13:14], off
	v_add_co_u32 v9, s0, s18, v9
	v_add_co_ci_u32_e64 v10, s0, s19, v10, s0
	global_load_b32 v11, v[11:12], off
	global_load_b32 v12, v[9:10], off
	s_waitcnt vmcnt(7)
	v_add_f32_e32 v1, v1, v3
	s_waitcnt vmcnt(6)
	s_delay_alu instid0(VALU_DEP_1) | instskip(SKIP_1) | instid1(VALU_DEP_1)
	v_add_f32_e32 v1, v1, v15
	s_waitcnt vmcnt(5)
	v_add_f32_e32 v1, v1, v16
	s_waitcnt vmcnt(4)
	s_delay_alu instid0(VALU_DEP_1) | instskip(SKIP_1) | instid1(VALU_DEP_1)
	v_add_f32_e32 v1, v1, v17
	s_waitcnt vmcnt(3)
	v_add_f32_e32 v3, v1, v18
	v_ashrrev_i32_e32 v1, 31, v0
	s_waitcnt vmcnt(2)
	s_delay_alu instid0(VALU_DEP_2) | instskip(NEXT) | instid1(VALU_DEP_2)
	v_add_f32_e32 v3, v3, v13
	v_lshlrev_b64 v[9:10], 2, v[0:1]
	s_waitcnt vmcnt(1)
	s_delay_alu instid0(VALU_DEP_2) | instskip(NEXT) | instid1(VALU_DEP_1)
	v_dual_add_f32 v1, v3, v11 :: v_dual_add_nc_u32 v0, s2, v0
	v_cmp_le_i32_e64 s0, s20, v0
	s_delay_alu instid0(VALU_DEP_3) | instskip(NEXT) | instid1(VALU_DEP_1)
	v_add_co_u32 v9, s1, v6, v9
	v_add_co_ci_u32_e64 v10, s1, v7, v10, s1
	s_waitcnt vmcnt(0)
	v_add_f32_e32 v1, v1, v12
	s_or_b32 s3, s0, s3
	global_store_b32 v[9:10], v1, off
	s_and_not1_b32 exec_lo, exec_lo, s3
	s_cbranch_execz .LBB95_6
.LBB95_4:                               ; =>This Inner Loop Header: Depth=1
	v_mov_b32_e32 v1, 0
	s_and_saveexec_b32 s1, vcc_lo
	s_cbranch_execz .LBB95_3
; %bb.5:                                ;   in Loop: Header=BB95_4 Depth=1
	v_ashrrev_i32_e32 v3, 31, v2
	s_delay_alu instid0(VALU_DEP_1) | instskip(NEXT) | instid1(VALU_DEP_1)
	v_lshlrev_b64 v[9:10], 1, v[2:3]
	v_add_co_u32 v9, s0, v4, v9
	s_delay_alu instid0(VALU_DEP_1)
	v_add_co_ci_u32_e64 v10, s0, v5, v10, s0
	global_load_u16 v1, v[9:10], off
	s_waitcnt vmcnt(0)
	v_cvt_f32_f16_e32 v1, v1
	s_branch .LBB95_3
.LBB95_6:
	s_nop 0
	s_sendmsg sendmsg(MSG_DEALLOC_VGPRS)
	s_endpgm
	.section	.rodata,"a",@progbits
	.p2align	6, 0x0
	.amdhsa_kernel _ZL11k_bin_bcastIXadL_ZL6op_addffEE6__halfffJPKfS2_S2_S2_S2_S2_S2_S2_EEvPKT0_PKT1_PT2_iii15HIP_vector_typeIjLj3EESC_SC_SC_SC_iiiiiiiiiiiDpT3_
		.amdhsa_group_segment_fixed_size 0
		.amdhsa_private_segment_fixed_size 0
		.amdhsa_kernarg_size 464
		.amdhsa_user_sgpr_count 13
		.amdhsa_user_sgpr_dispatch_ptr 0
		.amdhsa_user_sgpr_queue_ptr 0
		.amdhsa_user_sgpr_kernarg_segment_ptr 1
		.amdhsa_user_sgpr_dispatch_id 0
		.amdhsa_user_sgpr_private_segment_size 0
		.amdhsa_wavefront_size32 1
		.amdhsa_uses_dynamic_stack 0
		.amdhsa_enable_private_segment 0
		.amdhsa_system_sgpr_workgroup_id_x 1
		.amdhsa_system_sgpr_workgroup_id_y 1
		.amdhsa_system_sgpr_workgroup_id_z 1
		.amdhsa_system_sgpr_workgroup_info 0
		.amdhsa_system_vgpr_workitem_id 2
		.amdhsa_next_free_vgpr 19
		.amdhsa_next_free_sgpr 44
		.amdhsa_reserve_vcc 1
		.amdhsa_float_round_mode_32 0
		.amdhsa_float_round_mode_16_64 0
		.amdhsa_float_denorm_mode_32 3
		.amdhsa_float_denorm_mode_16_64 3
		.amdhsa_dx10_clamp 1
		.amdhsa_ieee_mode 1
		.amdhsa_fp16_overflow 0
		.amdhsa_workgroup_processor_mode 1
		.amdhsa_memory_ordered 1
		.amdhsa_forward_progress 0
		.amdhsa_shared_vgpr_count 0
		.amdhsa_exception_fp_ieee_invalid_op 0
		.amdhsa_exception_fp_denorm_src 0
		.amdhsa_exception_fp_ieee_div_zero 0
		.amdhsa_exception_fp_ieee_overflow 0
		.amdhsa_exception_fp_ieee_underflow 0
		.amdhsa_exception_fp_ieee_inexact 0
		.amdhsa_exception_int_div_zero 0
	.end_amdhsa_kernel
	.section	.text._ZL11k_bin_bcastIXadL_ZL6op_addffEE6__halfffJPKfS2_S2_S2_S2_S2_S2_S2_EEvPKT0_PKT1_PT2_iii15HIP_vector_typeIjLj3EESC_SC_SC_SC_iiiiiiiiiiiDpT3_,"axG",@progbits,_ZL11k_bin_bcastIXadL_ZL6op_addffEE6__halfffJPKfS2_S2_S2_S2_S2_S2_S2_EEvPKT0_PKT1_PT2_iii15HIP_vector_typeIjLj3EESC_SC_SC_SC_iiiiiiiiiiiDpT3_,comdat
.Lfunc_end95:
	.size	_ZL11k_bin_bcastIXadL_ZL6op_addffEE6__halfffJPKfS2_S2_S2_S2_S2_S2_S2_EEvPKT0_PKT1_PT2_iii15HIP_vector_typeIjLj3EESC_SC_SC_SC_iiiiiiiiiiiDpT3_, .Lfunc_end95-_ZL11k_bin_bcastIXadL_ZL6op_addffEE6__halfffJPKfS2_S2_S2_S2_S2_S2_S2_EEvPKT0_PKT1_PT2_iii15HIP_vector_typeIjLj3EESC_SC_SC_SC_iiiiiiiiiiiDpT3_
                                        ; -- End function
	.section	.AMDGPU.csdata,"",@progbits
; Kernel info:
; codeLenInByte = 1116
; NumSgprs: 46
; NumVgprs: 19
; ScratchSize: 0
; MemoryBound: 0
; FloatMode: 240
; IeeeMode: 1
; LDSByteSize: 0 bytes/workgroup (compile time only)
; SGPRBlocks: 5
; VGPRBlocks: 2
; NumSGPRsForWavesPerEU: 46
; NumVGPRsForWavesPerEU: 19
; Occupancy: 16
; WaveLimiterHint : 1
; COMPUTE_PGM_RSRC2:SCRATCH_EN: 0
; COMPUTE_PGM_RSRC2:USER_SGPR: 13
; COMPUTE_PGM_RSRC2:TRAP_HANDLER: 0
; COMPUTE_PGM_RSRC2:TGID_X_EN: 1
; COMPUTE_PGM_RSRC2:TGID_Y_EN: 1
; COMPUTE_PGM_RSRC2:TGID_Z_EN: 1
; COMPUTE_PGM_RSRC2:TIDIG_COMP_CNT: 2
	.section	.text._ZL19k_bin_bcast_unravelIXadL_ZL6op_mulffEEfffJPKfS1_EEvPKT0_PKT1_PT2_15HIP_vector_typeIjLj3EESB_SB_jSB_SB_SB_SB_SB_SB_iiiiiiiiiiiDpT3_,"axG",@progbits,_ZL19k_bin_bcast_unravelIXadL_ZL6op_mulffEEfffJPKfS1_EEvPKT0_PKT1_PT2_15HIP_vector_typeIjLj3EESB_SB_jSB_SB_SB_SB_SB_SB_iiiiiiiiiiiDpT3_,comdat
	.globl	_ZL19k_bin_bcast_unravelIXadL_ZL6op_mulffEEfffJPKfS1_EEvPKT0_PKT1_PT2_15HIP_vector_typeIjLj3EESB_SB_jSB_SB_SB_SB_SB_SB_iiiiiiiiiiiDpT3_ ; -- Begin function _ZL19k_bin_bcast_unravelIXadL_ZL6op_mulffEEfffJPKfS1_EEvPKT0_PKT1_PT2_15HIP_vector_typeIjLj3EESB_SB_jSB_SB_SB_SB_SB_SB_iiiiiiiiiiiDpT3_
	.p2align	8
	.type	_ZL19k_bin_bcast_unravelIXadL_ZL6op_mulffEEfffJPKfS1_EEvPKT0_PKT1_PT2_15HIP_vector_typeIjLj3EESB_SB_jSB_SB_SB_SB_SB_SB_iiiiiiiiiiiDpT3_,@function
_ZL19k_bin_bcast_unravelIXadL_ZL6op_mulffEEfffJPKfS1_EEvPKT0_PKT1_PT2_15HIP_vector_typeIjLj3EESB_SB_jSB_SB_SB_SB_SB_SB_iiiiiiiiiiiDpT3_: ; @_ZL19k_bin_bcast_unravelIXadL_ZL6op_mulffEEfffJPKfS1_EEvPKT0_PKT1_PT2_15HIP_vector_typeIjLj3EESB_SB_jSB_SB_SB_SB_SB_SB_iiiiiiiiiiiDpT3_
; %bb.0:
	s_clause 0x1
	s_load_b32 s2, s[0:1], 0xd4
	s_load_b256 s[4:11], s[0:1], 0x38
	s_waitcnt lgkmcnt(0)
	s_and_b32 s2, s2, 0xffff
	s_delay_alu instid0(SALU_CYCLE_1) | instskip(SKIP_3) | instid1(VALU_DEP_1)
	v_mad_u64_u32 v[2:3], null, s15, s2, v[0:1]
	s_clause 0x1
	s_load_b128 s[12:15], s[0:1], 0x18
	s_load_b32 s2, s[0:1], 0x2c
	v_mul_hi_u32 v0, v2, s6
	s_delay_alu instid0(VALU_DEP_1) | instskip(NEXT) | instid1(VALU_DEP_1)
	v_add_nc_u32_e32 v0, v2, v0
	v_lshrrev_b32_e32 v1, s7, v0
	s_delay_alu instid0(VALU_DEP_1) | instskip(NEXT) | instid1(VALU_DEP_1)
	v_mul_lo_u32 v0, v1, s8
	v_sub_nc_u32_e32 v0, v2, v0
	s_delay_alu instid0(VALU_DEP_1) | instskip(NEXT) | instid1(VALU_DEP_1)
	v_mul_hi_u32 v2, v0, s9
	v_add_nc_u32_e32 v2, v0, v2
	s_delay_alu instid0(VALU_DEP_1) | instskip(NEXT) | instid1(VALU_DEP_1)
	v_lshrrev_b32_e32 v2, s10, v2
	v_mul_lo_u32 v3, v2, s11
	v_cmp_gt_u32_e64 s3, s4, v2
	v_cmp_gt_u32_e64 s4, s5, v1
	s_delay_alu instid0(VALU_DEP_3) | instskip(SKIP_1) | instid1(VALU_DEP_1)
	v_sub_nc_u32_e32 v0, v0, v3
	s_waitcnt lgkmcnt(0)
	v_mul_hi_u32 v3, v0, s12
	s_delay_alu instid0(VALU_DEP_1) | instskip(NEXT) | instid1(VALU_DEP_1)
	v_add_nc_u32_e32 v3, v0, v3
	v_lshrrev_b32_e32 v3, s13, v3
	s_delay_alu instid0(VALU_DEP_1) | instskip(SKIP_1) | instid1(VALU_DEP_2)
	v_mul_lo_u32 v4, v3, s14
	v_cmp_gt_u32_e64 s2, s2, v3
	v_sub_nc_u32_e32 v0, v0, v4
	s_delay_alu instid0(VALU_DEP_1) | instskip(NEXT) | instid1(VALU_DEP_3)
	v_cmp_gt_u32_e32 vcc_lo, s14, v0
	s_and_b32 s2, vcc_lo, s2
	s_delay_alu instid0(SALU_CYCLE_1) | instskip(NEXT) | instid1(SALU_CYCLE_1)
	s_and_b32 s2, s2, s3
	s_and_b32 s2, s4, s2
	s_delay_alu instid0(SALU_CYCLE_1)
	s_and_saveexec_b32 s3, s2
	s_cbranch_execz .LBB96_5
; %bb.1:
	s_clause 0x4
	s_load_b64 s[2:3], s[0:1], 0x0
	s_load_b128 s[20:23], s[0:1], 0xa8
	s_load_b256 s[4:11], s[0:1], 0x88
	s_load_b128 s[24:27], s[0:1], 0x78
	s_load_b256 s[12:19], s[0:1], 0x58
	s_waitcnt lgkmcnt(0)
	s_cmp_eq_u64 s[2:3], 0
	s_cbranch_scc1 .LBB96_3
; %bb.2:
	v_mul_lo_u32 v4, v1, s10
	v_mul_lo_u32 v6, v2, s9
	;; [unrolled: 1-line block ×3, first 2 shown]
	v_mov_b32_e32 v5, 0
	s_delay_alu instid0(VALU_DEP_2) | instskip(NEXT) | instid1(VALU_DEP_1)
	v_add3_u32 v4, v6, v4, v7
	v_lshlrev_b64 v[6:7], 2, v[4:5]
	v_mul_lo_u32 v4, v0, s7
	s_delay_alu instid0(VALU_DEP_2) | instskip(NEXT) | instid1(VALU_DEP_3)
	v_add_co_u32 v6, vcc_lo, s2, v6
	v_add_co_ci_u32_e32 v7, vcc_lo, s3, v7, vcc_lo
	s_delay_alu instid0(VALU_DEP_3) | instskip(NEXT) | instid1(VALU_DEP_1)
	v_lshlrev_b64 v[4:5], 2, v[4:5]
	v_add_co_u32 v4, vcc_lo, v6, v4
	s_delay_alu instid0(VALU_DEP_2)
	v_add_co_ci_u32_e32 v5, vcc_lo, v7, v5, vcc_lo
	global_load_b32 v4, v[4:5], off
	s_branch .LBB96_4
.LBB96_3:
	v_mov_b32_e32 v4, 0
.LBB96_4:
	v_mul_hi_u32 v5, s25, v1
	v_mul_hi_u32 v6, s18, v2
	;; [unrolled: 1-line block ×4, first 2 shown]
	s_delay_alu instid0(VALU_DEP_4) | instskip(NEXT) | instid1(VALU_DEP_4)
	v_add_nc_u32_e32 v5, v1, v5
	v_add_nc_u32_e32 v6, v2, v6
	s_delay_alu instid0(VALU_DEP_4) | instskip(NEXT) | instid1(VALU_DEP_4)
	v_add_nc_u32_e32 v7, v3, v7
	v_add_nc_u32_e32 v8, v0, v8
	s_delay_alu instid0(VALU_DEP_4) | instskip(NEXT) | instid1(VALU_DEP_4)
	v_lshrrev_b32_e32 v5, s26, v5
	v_lshrrev_b32_e32 v6, s19, v6
	s_delay_alu instid0(VALU_DEP_4) | instskip(NEXT) | instid1(VALU_DEP_4)
	v_lshrrev_b32_e32 v7, s16, v7
	v_lshrrev_b32_e32 v8, s13, v8
	s_delay_alu instid0(VALU_DEP_4) | instskip(NEXT) | instid1(VALU_DEP_4)
	v_mul_lo_u32 v5, v5, s27
	v_mul_lo_u32 v6, v6, s24
	s_delay_alu instid0(VALU_DEP_4) | instskip(NEXT) | instid1(VALU_DEP_4)
	v_mul_lo_u32 v7, v7, s17
	v_mul_lo_u32 v8, v8, s14
	s_delay_alu instid0(VALU_DEP_4) | instskip(NEXT) | instid1(VALU_DEP_4)
	v_sub_nc_u32_e32 v5, v1, v5
	v_sub_nc_u32_e32 v6, v2, v6
	s_delay_alu instid0(VALU_DEP_4) | instskip(NEXT) | instid1(VALU_DEP_4)
	v_sub_nc_u32_e32 v7, v3, v7
	v_sub_nc_u32_e32 v8, v0, v8
	v_mul_lo_u32 v1, v1, s6
	v_mul_lo_u32 v5, v5, s22
	;; [unrolled: 1-line block ×5, first 2 shown]
	s_clause 0x1
	s_load_b128 s[8:11], s[0:1], 0xb8
	s_load_b64 s[0:1], s[0:1], 0x10
	v_mul_lo_u32 v2, v2, s5
	s_delay_alu instid0(VALU_DEP_3) | instskip(NEXT) | instid1(VALU_DEP_3)
	v_add3_u32 v5, v6, v5, v7
	v_ashrrev_i32_e32 v6, 31, v8
	s_delay_alu instid0(VALU_DEP_2) | instskip(SKIP_1) | instid1(VALU_DEP_2)
	v_ashrrev_i32_e32 v7, 31, v5
	v_add_co_u32 v5, vcc_lo, v8, v5
	v_add_co_ci_u32_e32 v6, vcc_lo, v6, v7, vcc_lo
	s_delay_alu instid0(VALU_DEP_1) | instskip(SKIP_1) | instid1(VALU_DEP_1)
	v_lshlrev_b64 v[5:6], 2, v[5:6]
	s_waitcnt lgkmcnt(0)
	v_add_co_u32 v7, vcc_lo, s8, v5
	s_delay_alu instid0(VALU_DEP_2)
	v_add_co_ci_u32_e32 v8, vcc_lo, s9, v6, vcc_lo
	v_add_co_u32 v5, vcc_lo, s10, v5
	v_add_co_ci_u32_e32 v6, vcc_lo, s11, v6, vcc_lo
	global_load_b32 v7, v[7:8], off
	global_load_b32 v5, v[5:6], off
	v_mul_lo_u32 v6, v3, s4
	v_mov_b32_e32 v3, 0
	s_delay_alu instid0(VALU_DEP_2) | instskip(NEXT) | instid1(VALU_DEP_2)
	v_add3_u32 v2, v2, v1, v6
	v_mov_b32_e32 v1, v3
	s_delay_alu instid0(VALU_DEP_2) | instskip(NEXT) | instid1(VALU_DEP_2)
	v_lshlrev_b64 v[2:3], 2, v[2:3]
	v_lshlrev_b64 v[0:1], 2, v[0:1]
	s_delay_alu instid0(VALU_DEP_2) | instskip(NEXT) | instid1(VALU_DEP_3)
	v_add_co_u32 v2, vcc_lo, s0, v2
	v_add_co_ci_u32_e32 v3, vcc_lo, s1, v3, vcc_lo
	s_delay_alu instid0(VALU_DEP_2) | instskip(NEXT) | instid1(VALU_DEP_2)
	v_add_co_u32 v0, vcc_lo, v2, v0
	v_add_co_ci_u32_e32 v1, vcc_lo, v3, v1, vcc_lo
	s_waitcnt vmcnt(1)
	v_mul_f32_e32 v4, v4, v7
	s_waitcnt vmcnt(0)
	s_delay_alu instid0(VALU_DEP_1)
	v_mul_f32_e32 v4, v4, v5
	global_store_b32 v[0:1], v4, off
.LBB96_5:
	s_nop 0
	s_sendmsg sendmsg(MSG_DEALLOC_VGPRS)
	s_endpgm
	.section	.rodata,"a",@progbits
	.p2align	6, 0x0
	.amdhsa_kernel _ZL19k_bin_bcast_unravelIXadL_ZL6op_mulffEEfffJPKfS1_EEvPKT0_PKT1_PT2_15HIP_vector_typeIjLj3EESB_SB_jSB_SB_SB_SB_SB_SB_iiiiiiiiiiiDpT3_
		.amdhsa_group_segment_fixed_size 0
		.amdhsa_private_segment_fixed_size 0
		.amdhsa_kernarg_size 456
		.amdhsa_user_sgpr_count 15
		.amdhsa_user_sgpr_dispatch_ptr 0
		.amdhsa_user_sgpr_queue_ptr 0
		.amdhsa_user_sgpr_kernarg_segment_ptr 1
		.amdhsa_user_sgpr_dispatch_id 0
		.amdhsa_user_sgpr_private_segment_size 0
		.amdhsa_wavefront_size32 1
		.amdhsa_uses_dynamic_stack 0
		.amdhsa_enable_private_segment 0
		.amdhsa_system_sgpr_workgroup_id_x 1
		.amdhsa_system_sgpr_workgroup_id_y 0
		.amdhsa_system_sgpr_workgroup_id_z 0
		.amdhsa_system_sgpr_workgroup_info 0
		.amdhsa_system_vgpr_workitem_id 0
		.amdhsa_next_free_vgpr 9
		.amdhsa_next_free_sgpr 28
		.amdhsa_reserve_vcc 1
		.amdhsa_float_round_mode_32 0
		.amdhsa_float_round_mode_16_64 0
		.amdhsa_float_denorm_mode_32 3
		.amdhsa_float_denorm_mode_16_64 3
		.amdhsa_dx10_clamp 1
		.amdhsa_ieee_mode 1
		.amdhsa_fp16_overflow 0
		.amdhsa_workgroup_processor_mode 1
		.amdhsa_memory_ordered 1
		.amdhsa_forward_progress 0
		.amdhsa_shared_vgpr_count 0
		.amdhsa_exception_fp_ieee_invalid_op 0
		.amdhsa_exception_fp_denorm_src 0
		.amdhsa_exception_fp_ieee_div_zero 0
		.amdhsa_exception_fp_ieee_overflow 0
		.amdhsa_exception_fp_ieee_underflow 0
		.amdhsa_exception_fp_ieee_inexact 0
		.amdhsa_exception_int_div_zero 0
	.end_amdhsa_kernel
	.section	.text._ZL19k_bin_bcast_unravelIXadL_ZL6op_mulffEEfffJPKfS1_EEvPKT0_PKT1_PT2_15HIP_vector_typeIjLj3EESB_SB_jSB_SB_SB_SB_SB_SB_iiiiiiiiiiiDpT3_,"axG",@progbits,_ZL19k_bin_bcast_unravelIXadL_ZL6op_mulffEEfffJPKfS1_EEvPKT0_PKT1_PT2_15HIP_vector_typeIjLj3EESB_SB_jSB_SB_SB_SB_SB_SB_iiiiiiiiiiiDpT3_,comdat
.Lfunc_end96:
	.size	_ZL19k_bin_bcast_unravelIXadL_ZL6op_mulffEEfffJPKfS1_EEvPKT0_PKT1_PT2_15HIP_vector_typeIjLj3EESB_SB_jSB_SB_SB_SB_SB_SB_iiiiiiiiiiiDpT3_, .Lfunc_end96-_ZL19k_bin_bcast_unravelIXadL_ZL6op_mulffEEfffJPKfS1_EEvPKT0_PKT1_PT2_15HIP_vector_typeIjLj3EESB_SB_jSB_SB_SB_SB_SB_SB_iiiiiiiiiiiDpT3_
                                        ; -- End function
	.section	.AMDGPU.csdata,"",@progbits
; Kernel info:
; codeLenInByte = 840
; NumSgprs: 30
; NumVgprs: 9
; ScratchSize: 0
; MemoryBound: 0
; FloatMode: 240
; IeeeMode: 1
; LDSByteSize: 0 bytes/workgroup (compile time only)
; SGPRBlocks: 3
; VGPRBlocks: 1
; NumSGPRsForWavesPerEU: 30
; NumVGPRsForWavesPerEU: 9
; Occupancy: 16
; WaveLimiterHint : 1
; COMPUTE_PGM_RSRC2:SCRATCH_EN: 0
; COMPUTE_PGM_RSRC2:USER_SGPR: 15
; COMPUTE_PGM_RSRC2:TRAP_HANDLER: 0
; COMPUTE_PGM_RSRC2:TGID_X_EN: 1
; COMPUTE_PGM_RSRC2:TGID_Y_EN: 0
; COMPUTE_PGM_RSRC2:TGID_Z_EN: 0
; COMPUTE_PGM_RSRC2:TIDIG_COMP_CNT: 0
	.section	.text._ZL11k_bin_bcastIXadL_ZL6op_mulffEEfffJPKfS1_EEvPKT0_PKT1_PT2_iii15HIP_vector_typeIjLj3EESB_SB_SB_SB_iiiiiiiiiiiDpT3_,"axG",@progbits,_ZL11k_bin_bcastIXadL_ZL6op_mulffEEfffJPKfS1_EEvPKT0_PKT1_PT2_iii15HIP_vector_typeIjLj3EESB_SB_SB_SB_iiiiiiiiiiiDpT3_,comdat
	.globl	_ZL11k_bin_bcastIXadL_ZL6op_mulffEEfffJPKfS1_EEvPKT0_PKT1_PT2_iii15HIP_vector_typeIjLj3EESB_SB_SB_SB_iiiiiiiiiiiDpT3_ ; -- Begin function _ZL11k_bin_bcastIXadL_ZL6op_mulffEEfffJPKfS1_EEvPKT0_PKT1_PT2_iii15HIP_vector_typeIjLj3EESB_SB_SB_SB_iiiiiiiiiiiDpT3_
	.p2align	8
	.type	_ZL11k_bin_bcastIXadL_ZL6op_mulffEEfffJPKfS1_EEvPKT0_PKT1_PT2_iii15HIP_vector_typeIjLj3EESB_SB_SB_SB_iiiiiiiiiiiDpT3_,@function
_ZL11k_bin_bcastIXadL_ZL6op_mulffEEfffJPKfS1_EEvPKT0_PKT1_PT2_iii15HIP_vector_typeIjLj3EESB_SB_SB_SB_iiiiiiiiiiiDpT3_: ; @_ZL11k_bin_bcastIXadL_ZL6op_mulffEEfffJPKfS1_EEvPKT0_PKT1_PT2_iii15HIP_vector_typeIjLj3EESB_SB_SB_SB_iiiiiiiiiiiDpT3_
; %bb.0:
	s_clause 0x1
	s_load_b64 s[2:3], s[0:1], 0xac
	s_load_b256 s[16:23], s[0:1], 0x18
	v_bfe_u32 v1, v0, 20, 10
	s_add_u32 s34, s0, 0xa0
	s_addc_u32 s35, s1, 0
	s_waitcnt lgkmcnt(0)
	s_and_b32 s3, s3, 0xffff
	s_and_b32 s12, s2, 0xffff
	v_mad_u64_u32 v[4:5], null, s15, s3, v[1:2]
	v_and_b32_e32 v2, 0x3ff, v0
	v_bfe_u32 v5, v0, 10, 10
	s_lshr_b32 s3, s2, 16
	s_delay_alu instid0(VALU_DEP_3) | instskip(NEXT) | instid1(VALU_DEP_1)
	v_mul_hi_u32 v1, v4, s19
	v_add_nc_u32_e32 v1, v4, v1
	s_delay_alu instid0(VALU_DEP_1) | instskip(NEXT) | instid1(VALU_DEP_1)
	v_lshrrev_b32_e32 v3, s20, v1
	v_mul_lo_u32 v6, v3, s21
	v_mad_u64_u32 v[0:1], null, s13, s12, v[2:3]
	s_delay_alu instid0(VALU_DEP_2) | instskip(SKIP_1) | instid1(VALU_DEP_3)
	v_mad_u64_u32 v[1:2], null, s14, s3, v[5:6]
	v_sub_nc_u32_e32 v4, v4, v6
	v_cmp_gt_u32_e32 vcc_lo, s16, v0
	v_cmp_gt_u32_e64 s3, s18, v3
	s_delay_alu instid0(VALU_DEP_3) | instskip(SKIP_1) | instid1(VALU_DEP_1)
	v_cmp_gt_u32_e64 s4, s21, v4
	v_cmp_gt_u32_e64 s2, s17, v1
	s_and_b32 s2, vcc_lo, s2
	s_delay_alu instid0(VALU_DEP_3) | instid1(SALU_CYCLE_1)
	s_and_b32 s2, s2, s3
	s_delay_alu instid0(VALU_DEP_2) | instid1(SALU_CYCLE_1)
	s_and_b32 s2, s2, s4
	s_delay_alu instid0(SALU_CYCLE_1)
	s_and_saveexec_b32 s3, s2
	s_cbranch_execz .LBB97_6
; %bb.1:
	v_cmp_gt_i32_e32 vcc_lo, s16, v0
	s_and_b32 exec_lo, exec_lo, vcc_lo
	s_cbranch_execz .LBB97_6
; %bb.2:
	s_clause 0x4
	s_load_b256 s[36:43], s[0:1], 0x3c
	s_load_b256 s[4:11], s[0:1], 0x60
	;; [unrolled: 1-line block ×3, first 2 shown]
	s_load_b32 s13, s[0:1], 0x5c
	s_load_b64 s[2:3], s[0:1], 0x0
	s_waitcnt lgkmcnt(0)
	v_mul_hi_u32 v2, s36, v1
	v_mul_hi_u32 v5, s39, v3
	;; [unrolled: 1-line block ×3, first 2 shown]
	v_mul_lo_u32 v9, v4, s10
	v_mul_lo_u32 v10, v3, s9
	;; [unrolled: 1-line block ×3, first 2 shown]
	v_mov_b32_e32 v6, 0
	v_mul_lo_u32 v13, v3, s5
	v_add_nc_u32_e32 v2, v1, v2
	v_add_nc_u32_e32 v5, v3, v5
	s_delay_alu instid0(VALU_DEP_4)
	v_dual_mov_b32 v8, v6 :: v_dual_add_nc_u32 v7, v4, v7
	s_clause 0x1
	s_load_b32 s5, s[0:1], 0x38
	s_load_b64 s[0:1], s[0:1], 0x10
	v_lshrrev_b32_e32 v2, s37, v2
	v_lshrrev_b32_e32 v15, s40, v5
	;; [unrolled: 1-line block ×3, first 2 shown]
	v_add3_u32 v5, v10, v11, v9
	v_mul_lo_u32 v12, v4, s6
	v_mul_lo_u32 v14, v1, s4
	;; [unrolled: 1-line block ×5, first 2 shown]
	s_load_b32 s4, s[34:35], 0x0
	v_lshlrev_b64 v[5:6], 2, v[5:6]
	s_cmp_lg_u64 s[2:3], 0
	v_mul_lo_u32 v2, s7, v0
	v_add3_u32 v7, v13, v14, v12
	v_sub_nc_u32_e32 v1, v1, v9
	v_sub_nc_u32_e32 v3, v3, v10
	;; [unrolled: 1-line block ×3, first 2 shown]
	v_add_co_u32 v9, vcc_lo, s2, v5
	v_add_co_ci_u32_e32 v5, vcc_lo, s3, v6, vcc_lo
	v_lshlrev_b64 v[7:8], 2, v[7:8]
	s_delay_alu instid0(VALU_DEP_4)
	v_mul_lo_u32 v10, v4, s26
	v_mul_lo_u32 v3, v3, s25
	;; [unrolled: 1-line block ×3, first 2 shown]
	s_cselect_b32 vcc_lo, -1, 0
	s_mov_b32 s3, 0
	v_cndmask_b32_e32 v5, 0, v5, vcc_lo
	v_cndmask_b32_e32 v4, 0, v9, vcc_lo
	s_waitcnt lgkmcnt(0)
	v_add_co_u32 v6, vcc_lo, s0, v7
	v_add_co_ci_u32_e32 v7, vcc_lo, s1, v8, vcc_lo
	s_delay_alu instid0(VALU_DEP_3)
	v_cmp_ne_u64_e32 vcc_lo, 0, v[4:5]
	v_add3_u32 v8, v3, v10, v1
	s_mul_i32 s2, s4, s12
	s_sub_i32 s5, 0, s5
	s_mul_i32 s4, s2, s7
	s_branch .LBB97_4
.LBB97_3:                               ;   in Loop: Header=BB97_4 Depth=1
	s_or_b32 exec_lo, exec_lo, s1
	v_mul_hi_u32 v1, s22, v0
	v_add_nc_u32_e32 v2, s4, v2
	s_delay_alu instid0(VALU_DEP_2) | instskip(NEXT) | instid1(VALU_DEP_1)
	v_add_nc_u32_e32 v1, v0, v1
	v_lshrrev_b32_e32 v1, s23, v1
	s_delay_alu instid0(VALU_DEP_1) | instskip(NEXT) | instid1(VALU_DEP_1)
	v_mad_u64_u32 v[9:10], null, s5, v1, v[0:1]
	v_mul_lo_u32 v1, v9, s11
	s_delay_alu instid0(VALU_DEP_1) | instskip(NEXT) | instid1(VALU_DEP_1)
	v_add_co_u32 v9, s0, v1, v8
	v_add_co_ci_u32_e64 v10, null, 0, 0, s0
	v_ashrrev_i32_e32 v1, 31, v0
	s_delay_alu instid0(VALU_DEP_2) | instskip(NEXT) | instid1(VALU_DEP_1)
	v_lshlrev_b64 v[9:10], 2, v[9:10]
	v_add_co_u32 v11, s0, s28, v9
	s_delay_alu instid0(VALU_DEP_1) | instskip(SKIP_1) | instid1(VALU_DEP_1)
	v_add_co_ci_u32_e64 v12, s0, s29, v10, s0
	v_add_co_u32 v9, s0, s30, v9
	v_add_co_ci_u32_e64 v10, s0, s31, v10, s0
	global_load_b32 v11, v[11:12], off
	global_load_b32 v12, v[9:10], off
	v_lshlrev_b64 v[9:10], 2, v[0:1]
	v_add_nc_u32_e32 v0, s2, v0
	s_delay_alu instid0(VALU_DEP_2) | instskip(NEXT) | instid1(VALU_DEP_1)
	v_add_co_u32 v9, s1, v6, v9
	v_add_co_ci_u32_e64 v10, s1, v7, v10, s1
	s_waitcnt vmcnt(1)
	v_mul_f32_e32 v1, v3, v11
	v_cmp_le_i32_e64 s0, s16, v0
	s_waitcnt vmcnt(0)
	s_delay_alu instid0(VALU_DEP_2) | instskip(NEXT) | instid1(VALU_DEP_2)
	v_mul_f32_e32 v1, v1, v12
	s_or_b32 s3, s0, s3
	global_store_b32 v[9:10], v1, off
	s_and_not1_b32 exec_lo, exec_lo, s3
	s_cbranch_execz .LBB97_6
.LBB97_4:                               ; =>This Inner Loop Header: Depth=1
	v_mov_b32_e32 v3, 0
	s_and_saveexec_b32 s1, vcc_lo
	s_cbranch_execz .LBB97_3
; %bb.5:                                ;   in Loop: Header=BB97_4 Depth=1
	v_ashrrev_i32_e32 v3, 31, v2
	s_delay_alu instid0(VALU_DEP_1) | instskip(NEXT) | instid1(VALU_DEP_1)
	v_lshlrev_b64 v[9:10], 2, v[2:3]
	v_add_co_u32 v9, s0, v4, v9
	s_delay_alu instid0(VALU_DEP_1)
	v_add_co_ci_u32_e64 v10, s0, v5, v10, s0
	global_load_b32 v3, v[9:10], off
	s_branch .LBB97_3
.LBB97_6:
	s_nop 0
	s_sendmsg sendmsg(MSG_DEALLOC_VGPRS)
	s_endpgm
	.section	.rodata,"a",@progbits
	.p2align	6, 0x0
	.amdhsa_kernel _ZL11k_bin_bcastIXadL_ZL6op_mulffEEfffJPKfS1_EEvPKT0_PKT1_PT2_iii15HIP_vector_typeIjLj3EESB_SB_SB_SB_iiiiiiiiiiiDpT3_
		.amdhsa_group_segment_fixed_size 0
		.amdhsa_private_segment_fixed_size 0
		.amdhsa_kernarg_size 416
		.amdhsa_user_sgpr_count 13
		.amdhsa_user_sgpr_dispatch_ptr 0
		.amdhsa_user_sgpr_queue_ptr 0
		.amdhsa_user_sgpr_kernarg_segment_ptr 1
		.amdhsa_user_sgpr_dispatch_id 0
		.amdhsa_user_sgpr_private_segment_size 0
		.amdhsa_wavefront_size32 1
		.amdhsa_uses_dynamic_stack 0
		.amdhsa_enable_private_segment 0
		.amdhsa_system_sgpr_workgroup_id_x 1
		.amdhsa_system_sgpr_workgroup_id_y 1
		.amdhsa_system_sgpr_workgroup_id_z 1
		.amdhsa_system_sgpr_workgroup_info 0
		.amdhsa_system_vgpr_workitem_id 2
		.amdhsa_next_free_vgpr 17
		.amdhsa_next_free_sgpr 44
		.amdhsa_reserve_vcc 1
		.amdhsa_float_round_mode_32 0
		.amdhsa_float_round_mode_16_64 0
		.amdhsa_float_denorm_mode_32 3
		.amdhsa_float_denorm_mode_16_64 3
		.amdhsa_dx10_clamp 1
		.amdhsa_ieee_mode 1
		.amdhsa_fp16_overflow 0
		.amdhsa_workgroup_processor_mode 1
		.amdhsa_memory_ordered 1
		.amdhsa_forward_progress 0
		.amdhsa_shared_vgpr_count 0
		.amdhsa_exception_fp_ieee_invalid_op 0
		.amdhsa_exception_fp_denorm_src 0
		.amdhsa_exception_fp_ieee_div_zero 0
		.amdhsa_exception_fp_ieee_overflow 0
		.amdhsa_exception_fp_ieee_underflow 0
		.amdhsa_exception_fp_ieee_inexact 0
		.amdhsa_exception_int_div_zero 0
	.end_amdhsa_kernel
	.section	.text._ZL11k_bin_bcastIXadL_ZL6op_mulffEEfffJPKfS1_EEvPKT0_PKT1_PT2_iii15HIP_vector_typeIjLj3EESB_SB_SB_SB_iiiiiiiiiiiDpT3_,"axG",@progbits,_ZL11k_bin_bcastIXadL_ZL6op_mulffEEfffJPKfS1_EEvPKT0_PKT1_PT2_iii15HIP_vector_typeIjLj3EESB_SB_SB_SB_iiiiiiiiiiiDpT3_,comdat
.Lfunc_end97:
	.size	_ZL11k_bin_bcastIXadL_ZL6op_mulffEEfffJPKfS1_EEvPKT0_PKT1_PT2_iii15HIP_vector_typeIjLj3EESB_SB_SB_SB_iiiiiiiiiiiDpT3_, .Lfunc_end97-_ZL11k_bin_bcastIXadL_ZL6op_mulffEEfffJPKfS1_EEvPKT0_PKT1_PT2_iii15HIP_vector_typeIjLj3EESB_SB_SB_SB_iiiiiiiiiiiDpT3_
                                        ; -- End function
	.section	.AMDGPU.csdata,"",@progbits
; Kernel info:
; codeLenInByte = 876
; NumSgprs: 46
; NumVgprs: 17
; ScratchSize: 0
; MemoryBound: 0
; FloatMode: 240
; IeeeMode: 1
; LDSByteSize: 0 bytes/workgroup (compile time only)
; SGPRBlocks: 5
; VGPRBlocks: 2
; NumSGPRsForWavesPerEU: 46
; NumVGPRsForWavesPerEU: 17
; Occupancy: 16
; WaveLimiterHint : 1
; COMPUTE_PGM_RSRC2:SCRATCH_EN: 0
; COMPUTE_PGM_RSRC2:USER_SGPR: 13
; COMPUTE_PGM_RSRC2:TRAP_HANDLER: 0
; COMPUTE_PGM_RSRC2:TGID_X_EN: 1
; COMPUTE_PGM_RSRC2:TGID_Y_EN: 1
; COMPUTE_PGM_RSRC2:TGID_Z_EN: 1
; COMPUTE_PGM_RSRC2:TIDIG_COMP_CNT: 2
	.section	.text._ZL19k_bin_bcast_unravelIXadL_ZL6op_mulffEE6__halfS0_S0_JPKS0_S2_EEvPKT0_PKT1_PT2_15HIP_vector_typeIjLj3EESC_SC_jSC_SC_SC_SC_SC_SC_iiiiiiiiiiiDpT3_,"axG",@progbits,_ZL19k_bin_bcast_unravelIXadL_ZL6op_mulffEE6__halfS0_S0_JPKS0_S2_EEvPKT0_PKT1_PT2_15HIP_vector_typeIjLj3EESC_SC_jSC_SC_SC_SC_SC_SC_iiiiiiiiiiiDpT3_,comdat
	.globl	_ZL19k_bin_bcast_unravelIXadL_ZL6op_mulffEE6__halfS0_S0_JPKS0_S2_EEvPKT0_PKT1_PT2_15HIP_vector_typeIjLj3EESC_SC_jSC_SC_SC_SC_SC_SC_iiiiiiiiiiiDpT3_ ; -- Begin function _ZL19k_bin_bcast_unravelIXadL_ZL6op_mulffEE6__halfS0_S0_JPKS0_S2_EEvPKT0_PKT1_PT2_15HIP_vector_typeIjLj3EESC_SC_jSC_SC_SC_SC_SC_SC_iiiiiiiiiiiDpT3_
	.p2align	8
	.type	_ZL19k_bin_bcast_unravelIXadL_ZL6op_mulffEE6__halfS0_S0_JPKS0_S2_EEvPKT0_PKT1_PT2_15HIP_vector_typeIjLj3EESC_SC_jSC_SC_SC_SC_SC_SC_iiiiiiiiiiiDpT3_,@function
_ZL19k_bin_bcast_unravelIXadL_ZL6op_mulffEE6__halfS0_S0_JPKS0_S2_EEvPKT0_PKT1_PT2_15HIP_vector_typeIjLj3EESC_SC_jSC_SC_SC_SC_SC_SC_iiiiiiiiiiiDpT3_: ; @_ZL19k_bin_bcast_unravelIXadL_ZL6op_mulffEE6__halfS0_S0_JPKS0_S2_EEvPKT0_PKT1_PT2_15HIP_vector_typeIjLj3EESC_SC_jSC_SC_SC_SC_SC_SC_iiiiiiiiiiiDpT3_
; %bb.0:
	s_clause 0x1
	s_load_b32 s2, s[0:1], 0xd4
	s_load_b256 s[4:11], s[0:1], 0x38
	s_waitcnt lgkmcnt(0)
	s_and_b32 s2, s2, 0xffff
	s_delay_alu instid0(SALU_CYCLE_1) | instskip(SKIP_3) | instid1(VALU_DEP_1)
	v_mad_u64_u32 v[2:3], null, s15, s2, v[0:1]
	s_clause 0x1
	s_load_b128 s[12:15], s[0:1], 0x18
	s_load_b32 s2, s[0:1], 0x2c
	v_mul_hi_u32 v0, v2, s6
	s_delay_alu instid0(VALU_DEP_1) | instskip(NEXT) | instid1(VALU_DEP_1)
	v_add_nc_u32_e32 v0, v2, v0
	v_lshrrev_b32_e32 v1, s7, v0
	s_delay_alu instid0(VALU_DEP_1) | instskip(NEXT) | instid1(VALU_DEP_1)
	v_mul_lo_u32 v0, v1, s8
	v_sub_nc_u32_e32 v0, v2, v0
	s_delay_alu instid0(VALU_DEP_1) | instskip(NEXT) | instid1(VALU_DEP_1)
	v_mul_hi_u32 v2, v0, s9
	v_add_nc_u32_e32 v2, v0, v2
	s_delay_alu instid0(VALU_DEP_1) | instskip(NEXT) | instid1(VALU_DEP_1)
	v_lshrrev_b32_e32 v2, s10, v2
	v_mul_lo_u32 v3, v2, s11
	v_cmp_gt_u32_e64 s3, s4, v2
	v_cmp_gt_u32_e64 s4, s5, v1
	s_delay_alu instid0(VALU_DEP_3) | instskip(SKIP_1) | instid1(VALU_DEP_1)
	v_sub_nc_u32_e32 v0, v0, v3
	s_waitcnt lgkmcnt(0)
	v_mul_hi_u32 v3, v0, s12
	s_delay_alu instid0(VALU_DEP_1) | instskip(NEXT) | instid1(VALU_DEP_1)
	v_add_nc_u32_e32 v3, v0, v3
	v_lshrrev_b32_e32 v3, s13, v3
	s_delay_alu instid0(VALU_DEP_1) | instskip(SKIP_1) | instid1(VALU_DEP_2)
	v_mul_lo_u32 v4, v3, s14
	v_cmp_gt_u32_e64 s2, s2, v3
	v_sub_nc_u32_e32 v0, v0, v4
	s_delay_alu instid0(VALU_DEP_1) | instskip(NEXT) | instid1(VALU_DEP_3)
	v_cmp_gt_u32_e32 vcc_lo, s14, v0
	s_and_b32 s2, vcc_lo, s2
	s_delay_alu instid0(SALU_CYCLE_1) | instskip(NEXT) | instid1(SALU_CYCLE_1)
	s_and_b32 s2, s2, s3
	s_and_b32 s2, s4, s2
	s_delay_alu instid0(SALU_CYCLE_1)
	s_and_saveexec_b32 s3, s2
	s_cbranch_execz .LBB98_5
; %bb.1:
	s_clause 0x4
	s_load_b64 s[2:3], s[0:1], 0x0
	s_load_b128 s[20:23], s[0:1], 0xa8
	s_load_b256 s[4:11], s[0:1], 0x88
	s_load_b128 s[24:27], s[0:1], 0x78
	s_load_b256 s[12:19], s[0:1], 0x58
	s_waitcnt lgkmcnt(0)
	s_cmp_eq_u64 s[2:3], 0
	s_cbranch_scc1 .LBB98_3
; %bb.2:
	v_mul_lo_u32 v4, v1, s10
	v_mul_lo_u32 v6, v2, s9
	;; [unrolled: 1-line block ×3, first 2 shown]
	v_mov_b32_e32 v5, 0
	s_delay_alu instid0(VALU_DEP_2) | instskip(NEXT) | instid1(VALU_DEP_1)
	v_add3_u32 v4, v6, v4, v7
	v_lshlrev_b64 v[6:7], 1, v[4:5]
	v_mul_lo_u32 v4, v0, s7
	s_delay_alu instid0(VALU_DEP_2) | instskip(NEXT) | instid1(VALU_DEP_3)
	v_add_co_u32 v6, vcc_lo, s2, v6
	v_add_co_ci_u32_e32 v7, vcc_lo, s3, v7, vcc_lo
	s_delay_alu instid0(VALU_DEP_3) | instskip(NEXT) | instid1(VALU_DEP_1)
	v_lshlrev_b64 v[4:5], 1, v[4:5]
	v_add_co_u32 v4, vcc_lo, v6, v4
	s_delay_alu instid0(VALU_DEP_2)
	v_add_co_ci_u32_e32 v5, vcc_lo, v7, v5, vcc_lo
	global_load_u16 v4, v[4:5], off
	s_waitcnt vmcnt(0)
	v_cvt_f32_f16_e32 v4, v4
	s_branch .LBB98_4
.LBB98_3:
	v_mov_b32_e32 v4, 0
.LBB98_4:
	v_mul_hi_u32 v5, s25, v1
	v_mul_hi_u32 v6, s18, v2
	;; [unrolled: 1-line block ×4, first 2 shown]
	s_delay_alu instid0(VALU_DEP_4) | instskip(NEXT) | instid1(VALU_DEP_4)
	v_add_nc_u32_e32 v5, v1, v5
	v_add_nc_u32_e32 v6, v2, v6
	s_delay_alu instid0(VALU_DEP_4) | instskip(NEXT) | instid1(VALU_DEP_4)
	v_add_nc_u32_e32 v7, v3, v7
	v_add_nc_u32_e32 v8, v0, v8
	s_delay_alu instid0(VALU_DEP_4) | instskip(NEXT) | instid1(VALU_DEP_4)
	v_lshrrev_b32_e32 v5, s26, v5
	v_lshrrev_b32_e32 v6, s19, v6
	s_delay_alu instid0(VALU_DEP_4) | instskip(NEXT) | instid1(VALU_DEP_4)
	v_lshrrev_b32_e32 v7, s16, v7
	v_lshrrev_b32_e32 v8, s13, v8
	s_delay_alu instid0(VALU_DEP_4) | instskip(NEXT) | instid1(VALU_DEP_4)
	v_mul_lo_u32 v5, v5, s27
	v_mul_lo_u32 v6, v6, s24
	s_delay_alu instid0(VALU_DEP_4) | instskip(NEXT) | instid1(VALU_DEP_4)
	v_mul_lo_u32 v7, v7, s17
	v_mul_lo_u32 v8, v8, s14
	s_delay_alu instid0(VALU_DEP_4) | instskip(NEXT) | instid1(VALU_DEP_4)
	v_sub_nc_u32_e32 v5, v1, v5
	v_sub_nc_u32_e32 v6, v2, v6
	s_delay_alu instid0(VALU_DEP_4) | instskip(NEXT) | instid1(VALU_DEP_4)
	v_sub_nc_u32_e32 v7, v3, v7
	v_sub_nc_u32_e32 v8, v0, v8
	v_mul_lo_u32 v1, v1, s6
	v_mul_lo_u32 v5, v5, s22
	;; [unrolled: 1-line block ×5, first 2 shown]
	s_clause 0x1
	s_load_b128 s[8:11], s[0:1], 0xb8
	s_load_b64 s[0:1], s[0:1], 0x10
	v_mul_lo_u32 v2, v2, s5
	s_delay_alu instid0(VALU_DEP_3) | instskip(NEXT) | instid1(VALU_DEP_3)
	v_add3_u32 v5, v6, v5, v7
	v_ashrrev_i32_e32 v6, 31, v8
	s_delay_alu instid0(VALU_DEP_2) | instskip(SKIP_1) | instid1(VALU_DEP_2)
	v_ashrrev_i32_e32 v7, 31, v5
	v_add_co_u32 v5, vcc_lo, v8, v5
	v_add_co_ci_u32_e32 v6, vcc_lo, v6, v7, vcc_lo
	s_delay_alu instid0(VALU_DEP_1) | instskip(SKIP_1) | instid1(VALU_DEP_1)
	v_lshlrev_b64 v[5:6], 1, v[5:6]
	s_waitcnt lgkmcnt(0)
	v_add_co_u32 v7, vcc_lo, s8, v5
	s_delay_alu instid0(VALU_DEP_2)
	v_add_co_ci_u32_e32 v8, vcc_lo, s9, v6, vcc_lo
	v_add_co_u32 v5, vcc_lo, s10, v5
	v_add_co_ci_u32_e32 v6, vcc_lo, s11, v6, vcc_lo
	global_load_u16 v7, v[7:8], off
	global_load_u16 v5, v[5:6], off
	v_mul_lo_u32 v6, v3, s4
	v_mov_b32_e32 v3, 0
	s_delay_alu instid0(VALU_DEP_2) | instskip(NEXT) | instid1(VALU_DEP_2)
	v_add3_u32 v2, v2, v1, v6
	v_mov_b32_e32 v1, v3
	s_delay_alu instid0(VALU_DEP_2) | instskip(NEXT) | instid1(VALU_DEP_2)
	v_lshlrev_b64 v[2:3], 1, v[2:3]
	v_lshlrev_b64 v[0:1], 1, v[0:1]
	s_delay_alu instid0(VALU_DEP_2) | instskip(NEXT) | instid1(VALU_DEP_3)
	v_add_co_u32 v2, vcc_lo, s0, v2
	v_add_co_ci_u32_e32 v3, vcc_lo, s1, v3, vcc_lo
	s_delay_alu instid0(VALU_DEP_2) | instskip(NEXT) | instid1(VALU_DEP_2)
	v_add_co_u32 v0, vcc_lo, v2, v0
	v_add_co_ci_u32_e32 v1, vcc_lo, v3, v1, vcc_lo
	s_waitcnt vmcnt(1)
	v_cvt_f32_f16_e32 v6, v7
	s_delay_alu instid0(VALU_DEP_1) | instskip(SKIP_1) | instid1(VALU_DEP_1)
	v_mul_f32_e32 v4, v4, v6
	s_waitcnt vmcnt(0)
	v_fma_mixlo_f16 v4, v4, v5, 0 op_sel_hi:[0,1,0]
	global_store_b16 v[0:1], v4, off
.LBB98_5:
	s_nop 0
	s_sendmsg sendmsg(MSG_DEALLOC_VGPRS)
	s_endpgm
	.section	.rodata,"a",@progbits
	.p2align	6, 0x0
	.amdhsa_kernel _ZL19k_bin_bcast_unravelIXadL_ZL6op_mulffEE6__halfS0_S0_JPKS0_S2_EEvPKT0_PKT1_PT2_15HIP_vector_typeIjLj3EESC_SC_jSC_SC_SC_SC_SC_SC_iiiiiiiiiiiDpT3_
		.amdhsa_group_segment_fixed_size 0
		.amdhsa_private_segment_fixed_size 0
		.amdhsa_kernarg_size 456
		.amdhsa_user_sgpr_count 15
		.amdhsa_user_sgpr_dispatch_ptr 0
		.amdhsa_user_sgpr_queue_ptr 0
		.amdhsa_user_sgpr_kernarg_segment_ptr 1
		.amdhsa_user_sgpr_dispatch_id 0
		.amdhsa_user_sgpr_private_segment_size 0
		.amdhsa_wavefront_size32 1
		.amdhsa_uses_dynamic_stack 0
		.amdhsa_enable_private_segment 0
		.amdhsa_system_sgpr_workgroup_id_x 1
		.amdhsa_system_sgpr_workgroup_id_y 0
		.amdhsa_system_sgpr_workgroup_id_z 0
		.amdhsa_system_sgpr_workgroup_info 0
		.amdhsa_system_vgpr_workitem_id 0
		.amdhsa_next_free_vgpr 9
		.amdhsa_next_free_sgpr 28
		.amdhsa_reserve_vcc 1
		.amdhsa_float_round_mode_32 0
		.amdhsa_float_round_mode_16_64 0
		.amdhsa_float_denorm_mode_32 3
		.amdhsa_float_denorm_mode_16_64 3
		.amdhsa_dx10_clamp 1
		.amdhsa_ieee_mode 1
		.amdhsa_fp16_overflow 0
		.amdhsa_workgroup_processor_mode 1
		.amdhsa_memory_ordered 1
		.amdhsa_forward_progress 0
		.amdhsa_shared_vgpr_count 0
		.amdhsa_exception_fp_ieee_invalid_op 0
		.amdhsa_exception_fp_denorm_src 0
		.amdhsa_exception_fp_ieee_div_zero 0
		.amdhsa_exception_fp_ieee_overflow 0
		.amdhsa_exception_fp_ieee_underflow 0
		.amdhsa_exception_fp_ieee_inexact 0
		.amdhsa_exception_int_div_zero 0
	.end_amdhsa_kernel
	.section	.text._ZL19k_bin_bcast_unravelIXadL_ZL6op_mulffEE6__halfS0_S0_JPKS0_S2_EEvPKT0_PKT1_PT2_15HIP_vector_typeIjLj3EESC_SC_jSC_SC_SC_SC_SC_SC_iiiiiiiiiiiDpT3_,"axG",@progbits,_ZL19k_bin_bcast_unravelIXadL_ZL6op_mulffEE6__halfS0_S0_JPKS0_S2_EEvPKT0_PKT1_PT2_15HIP_vector_typeIjLj3EESC_SC_jSC_SC_SC_SC_SC_SC_iiiiiiiiiiiDpT3_,comdat
.Lfunc_end98:
	.size	_ZL19k_bin_bcast_unravelIXadL_ZL6op_mulffEE6__halfS0_S0_JPKS0_S2_EEvPKT0_PKT1_PT2_15HIP_vector_typeIjLj3EESC_SC_jSC_SC_SC_SC_SC_SC_iiiiiiiiiiiDpT3_, .Lfunc_end98-_ZL19k_bin_bcast_unravelIXadL_ZL6op_mulffEE6__halfS0_S0_JPKS0_S2_EEvPKT0_PKT1_PT2_15HIP_vector_typeIjLj3EESC_SC_jSC_SC_SC_SC_SC_SC_iiiiiiiiiiiDpT3_
                                        ; -- End function
	.section	.AMDGPU.csdata,"",@progbits
; Kernel info:
; codeLenInByte = 856
; NumSgprs: 30
; NumVgprs: 9
; ScratchSize: 0
; MemoryBound: 0
; FloatMode: 240
; IeeeMode: 1
; LDSByteSize: 0 bytes/workgroup (compile time only)
; SGPRBlocks: 3
; VGPRBlocks: 1
; NumSGPRsForWavesPerEU: 30
; NumVGPRsForWavesPerEU: 9
; Occupancy: 16
; WaveLimiterHint : 1
; COMPUTE_PGM_RSRC2:SCRATCH_EN: 0
; COMPUTE_PGM_RSRC2:USER_SGPR: 15
; COMPUTE_PGM_RSRC2:TRAP_HANDLER: 0
; COMPUTE_PGM_RSRC2:TGID_X_EN: 1
; COMPUTE_PGM_RSRC2:TGID_Y_EN: 0
; COMPUTE_PGM_RSRC2:TGID_Z_EN: 0
; COMPUTE_PGM_RSRC2:TIDIG_COMP_CNT: 0
	.section	.text._ZL11k_bin_bcastIXadL_ZL6op_mulffEE6__halfS0_S0_JPKS0_S2_EEvPKT0_PKT1_PT2_iii15HIP_vector_typeIjLj3EESC_SC_SC_SC_iiiiiiiiiiiDpT3_,"axG",@progbits,_ZL11k_bin_bcastIXadL_ZL6op_mulffEE6__halfS0_S0_JPKS0_S2_EEvPKT0_PKT1_PT2_iii15HIP_vector_typeIjLj3EESC_SC_SC_SC_iiiiiiiiiiiDpT3_,comdat
	.globl	_ZL11k_bin_bcastIXadL_ZL6op_mulffEE6__halfS0_S0_JPKS0_S2_EEvPKT0_PKT1_PT2_iii15HIP_vector_typeIjLj3EESC_SC_SC_SC_iiiiiiiiiiiDpT3_ ; -- Begin function _ZL11k_bin_bcastIXadL_ZL6op_mulffEE6__halfS0_S0_JPKS0_S2_EEvPKT0_PKT1_PT2_iii15HIP_vector_typeIjLj3EESC_SC_SC_SC_iiiiiiiiiiiDpT3_
	.p2align	8
	.type	_ZL11k_bin_bcastIXadL_ZL6op_mulffEE6__halfS0_S0_JPKS0_S2_EEvPKT0_PKT1_PT2_iii15HIP_vector_typeIjLj3EESC_SC_SC_SC_iiiiiiiiiiiDpT3_,@function
_ZL11k_bin_bcastIXadL_ZL6op_mulffEE6__halfS0_S0_JPKS0_S2_EEvPKT0_PKT1_PT2_iii15HIP_vector_typeIjLj3EESC_SC_SC_SC_iiiiiiiiiiiDpT3_: ; @_ZL11k_bin_bcastIXadL_ZL6op_mulffEE6__halfS0_S0_JPKS0_S2_EEvPKT0_PKT1_PT2_iii15HIP_vector_typeIjLj3EESC_SC_SC_SC_iiiiiiiiiiiDpT3_
; %bb.0:
	s_clause 0x1
	s_load_b64 s[2:3], s[0:1], 0xac
	s_load_b256 s[16:23], s[0:1], 0x18
	v_bfe_u32 v1, v0, 20, 10
	s_add_u32 s34, s0, 0xa0
	s_addc_u32 s35, s1, 0
	s_waitcnt lgkmcnt(0)
	s_and_b32 s3, s3, 0xffff
	s_and_b32 s12, s2, 0xffff
	v_mad_u64_u32 v[4:5], null, s15, s3, v[1:2]
	v_and_b32_e32 v2, 0x3ff, v0
	v_bfe_u32 v5, v0, 10, 10
	s_lshr_b32 s3, s2, 16
	s_delay_alu instid0(VALU_DEP_3) | instskip(NEXT) | instid1(VALU_DEP_1)
	v_mul_hi_u32 v1, v4, s19
	v_add_nc_u32_e32 v1, v4, v1
	s_delay_alu instid0(VALU_DEP_1) | instskip(NEXT) | instid1(VALU_DEP_1)
	v_lshrrev_b32_e32 v3, s20, v1
	v_mul_lo_u32 v6, v3, s21
	v_mad_u64_u32 v[0:1], null, s13, s12, v[2:3]
	s_delay_alu instid0(VALU_DEP_2) | instskip(SKIP_1) | instid1(VALU_DEP_3)
	v_mad_u64_u32 v[1:2], null, s14, s3, v[5:6]
	v_sub_nc_u32_e32 v4, v4, v6
	v_cmp_gt_u32_e32 vcc_lo, s16, v0
	v_cmp_gt_u32_e64 s3, s18, v3
	s_delay_alu instid0(VALU_DEP_3) | instskip(SKIP_1) | instid1(VALU_DEP_1)
	v_cmp_gt_u32_e64 s4, s21, v4
	v_cmp_gt_u32_e64 s2, s17, v1
	s_and_b32 s2, vcc_lo, s2
	s_delay_alu instid0(VALU_DEP_3) | instid1(SALU_CYCLE_1)
	s_and_b32 s2, s2, s3
	s_delay_alu instid0(VALU_DEP_2) | instid1(SALU_CYCLE_1)
	s_and_b32 s2, s2, s4
	s_delay_alu instid0(SALU_CYCLE_1)
	s_and_saveexec_b32 s3, s2
	s_cbranch_execz .LBB99_6
; %bb.1:
	v_cmp_gt_i32_e32 vcc_lo, s16, v0
	s_and_b32 exec_lo, exec_lo, vcc_lo
	s_cbranch_execz .LBB99_6
; %bb.2:
	s_clause 0x4
	s_load_b256 s[36:43], s[0:1], 0x3c
	s_load_b256 s[4:11], s[0:1], 0x60
	s_load_b256 s[24:31], s[0:1], 0x80
	s_load_b32 s13, s[0:1], 0x5c
	s_load_b64 s[2:3], s[0:1], 0x0
	s_waitcnt lgkmcnt(0)
	v_mul_hi_u32 v2, s36, v1
	v_mul_hi_u32 v5, s39, v3
	v_mul_hi_u32 v7, s42, v4
	v_mul_lo_u32 v9, v4, s10
	v_mul_lo_u32 v10, v3, s9
	;; [unrolled: 1-line block ×3, first 2 shown]
	v_mov_b32_e32 v6, 0
	v_mul_lo_u32 v13, v3, s5
	v_add_nc_u32_e32 v2, v1, v2
	v_add_nc_u32_e32 v5, v3, v5
	s_delay_alu instid0(VALU_DEP_4)
	v_dual_mov_b32 v8, v6 :: v_dual_add_nc_u32 v7, v4, v7
	s_clause 0x1
	s_load_b32 s5, s[0:1], 0x38
	s_load_b64 s[0:1], s[0:1], 0x10
	v_lshrrev_b32_e32 v2, s37, v2
	v_lshrrev_b32_e32 v15, s40, v5
	;; [unrolled: 1-line block ×3, first 2 shown]
	v_add3_u32 v5, v10, v11, v9
	v_mul_lo_u32 v12, v4, s6
	v_mul_lo_u32 v14, v1, s4
	;; [unrolled: 1-line block ×5, first 2 shown]
	s_load_b32 s4, s[34:35], 0x0
	v_lshlrev_b64 v[5:6], 1, v[5:6]
	s_cmp_lg_u64 s[2:3], 0
	v_mul_lo_u32 v2, s7, v0
	v_add3_u32 v7, v13, v14, v12
	v_sub_nc_u32_e32 v1, v1, v9
	v_sub_nc_u32_e32 v3, v3, v10
	;; [unrolled: 1-line block ×3, first 2 shown]
	v_add_co_u32 v9, vcc_lo, s2, v5
	v_add_co_ci_u32_e32 v5, vcc_lo, s3, v6, vcc_lo
	v_lshlrev_b64 v[7:8], 1, v[7:8]
	s_delay_alu instid0(VALU_DEP_4)
	v_mul_lo_u32 v10, v4, s26
	v_mul_lo_u32 v3, v3, s25
	;; [unrolled: 1-line block ×3, first 2 shown]
	s_cselect_b32 vcc_lo, -1, 0
	s_mov_b32 s3, 0
	v_cndmask_b32_e32 v5, 0, v5, vcc_lo
	v_cndmask_b32_e32 v4, 0, v9, vcc_lo
	s_waitcnt lgkmcnt(0)
	v_add_co_u32 v6, vcc_lo, s0, v7
	v_add_co_ci_u32_e32 v7, vcc_lo, s1, v8, vcc_lo
	s_delay_alu instid0(VALU_DEP_3)
	v_cmp_ne_u64_e32 vcc_lo, 0, v[4:5]
	v_add3_u32 v8, v3, v10, v1
	s_mul_i32 s2, s4, s12
	s_sub_i32 s5, 0, s5
	s_mul_i32 s4, s2, s7
	s_branch .LBB99_4
.LBB99_3:                               ;   in Loop: Header=BB99_4 Depth=1
	s_or_b32 exec_lo, exec_lo, s1
	v_mul_hi_u32 v1, s22, v0
	v_add_nc_u32_e32 v2, s4, v2
	s_delay_alu instid0(VALU_DEP_2) | instskip(NEXT) | instid1(VALU_DEP_1)
	v_add_nc_u32_e32 v1, v0, v1
	v_lshrrev_b32_e32 v1, s23, v1
	s_delay_alu instid0(VALU_DEP_1) | instskip(NEXT) | instid1(VALU_DEP_1)
	v_mad_u64_u32 v[9:10], null, s5, v1, v[0:1]
	v_mul_lo_u32 v1, v9, s11
	s_delay_alu instid0(VALU_DEP_1) | instskip(NEXT) | instid1(VALU_DEP_1)
	v_add_co_u32 v9, s0, v1, v8
	v_add_co_ci_u32_e64 v10, null, 0, 0, s0
	v_ashrrev_i32_e32 v1, 31, v0
	s_delay_alu instid0(VALU_DEP_2) | instskip(NEXT) | instid1(VALU_DEP_1)
	v_lshlrev_b64 v[9:10], 1, v[9:10]
	v_add_co_u32 v11, s0, s28, v9
	s_delay_alu instid0(VALU_DEP_1) | instskip(SKIP_1) | instid1(VALU_DEP_1)
	v_add_co_ci_u32_e64 v12, s0, s29, v10, s0
	v_add_co_u32 v9, s0, s30, v9
	v_add_co_ci_u32_e64 v10, s0, s31, v10, s0
	global_load_u16 v11, v[11:12], off
	global_load_u16 v12, v[9:10], off
	v_lshlrev_b64 v[9:10], 1, v[0:1]
	s_delay_alu instid0(VALU_DEP_1) | instskip(NEXT) | instid1(VALU_DEP_1)
	v_add_co_u32 v9, s1, v6, v9
	v_add_co_ci_u32_e64 v10, s1, v7, v10, s1
	s_waitcnt vmcnt(1)
	v_cvt_f32_f16_e32 v11, v11
	s_delay_alu instid0(VALU_DEP_1) | instskip(NEXT) | instid1(VALU_DEP_1)
	v_dual_mul_f32 v1, v3, v11 :: v_dual_add_nc_u32 v0, s2, v0
	v_cmp_le_i32_e64 s0, s16, v0
	s_waitcnt vmcnt(0)
	s_delay_alu instid0(VALU_DEP_2) | instskip(NEXT) | instid1(VALU_DEP_2)
	v_fma_mixlo_f16 v1, v1, v12, 0 op_sel_hi:[0,1,0]
	s_or_b32 s3, s0, s3
	global_store_b16 v[9:10], v1, off
	s_and_not1_b32 exec_lo, exec_lo, s3
	s_cbranch_execz .LBB99_6
.LBB99_4:                               ; =>This Inner Loop Header: Depth=1
	v_mov_b32_e32 v3, 0
	s_and_saveexec_b32 s1, vcc_lo
	s_cbranch_execz .LBB99_3
; %bb.5:                                ;   in Loop: Header=BB99_4 Depth=1
	v_ashrrev_i32_e32 v3, 31, v2
	s_delay_alu instid0(VALU_DEP_1) | instskip(NEXT) | instid1(VALU_DEP_1)
	v_lshlrev_b64 v[9:10], 1, v[2:3]
	v_add_co_u32 v9, s0, v4, v9
	s_delay_alu instid0(VALU_DEP_1)
	v_add_co_ci_u32_e64 v10, s0, v5, v10, s0
	global_load_u16 v1, v[9:10], off
	s_waitcnt vmcnt(0)
	v_cvt_f32_f16_e32 v3, v1
	s_branch .LBB99_3
.LBB99_6:
	s_nop 0
	s_sendmsg sendmsg(MSG_DEALLOC_VGPRS)
	s_endpgm
	.section	.rodata,"a",@progbits
	.p2align	6, 0x0
	.amdhsa_kernel _ZL11k_bin_bcastIXadL_ZL6op_mulffEE6__halfS0_S0_JPKS0_S2_EEvPKT0_PKT1_PT2_iii15HIP_vector_typeIjLj3EESC_SC_SC_SC_iiiiiiiiiiiDpT3_
		.amdhsa_group_segment_fixed_size 0
		.amdhsa_private_segment_fixed_size 0
		.amdhsa_kernarg_size 416
		.amdhsa_user_sgpr_count 13
		.amdhsa_user_sgpr_dispatch_ptr 0
		.amdhsa_user_sgpr_queue_ptr 0
		.amdhsa_user_sgpr_kernarg_segment_ptr 1
		.amdhsa_user_sgpr_dispatch_id 0
		.amdhsa_user_sgpr_private_segment_size 0
		.amdhsa_wavefront_size32 1
		.amdhsa_uses_dynamic_stack 0
		.amdhsa_enable_private_segment 0
		.amdhsa_system_sgpr_workgroup_id_x 1
		.amdhsa_system_sgpr_workgroup_id_y 1
		.amdhsa_system_sgpr_workgroup_id_z 1
		.amdhsa_system_sgpr_workgroup_info 0
		.amdhsa_system_vgpr_workitem_id 2
		.amdhsa_next_free_vgpr 17
		.amdhsa_next_free_sgpr 44
		.amdhsa_reserve_vcc 1
		.amdhsa_float_round_mode_32 0
		.amdhsa_float_round_mode_16_64 0
		.amdhsa_float_denorm_mode_32 3
		.amdhsa_float_denorm_mode_16_64 3
		.amdhsa_dx10_clamp 1
		.amdhsa_ieee_mode 1
		.amdhsa_fp16_overflow 0
		.amdhsa_workgroup_processor_mode 1
		.amdhsa_memory_ordered 1
		.amdhsa_forward_progress 0
		.amdhsa_shared_vgpr_count 0
		.amdhsa_exception_fp_ieee_invalid_op 0
		.amdhsa_exception_fp_denorm_src 0
		.amdhsa_exception_fp_ieee_div_zero 0
		.amdhsa_exception_fp_ieee_overflow 0
		.amdhsa_exception_fp_ieee_underflow 0
		.amdhsa_exception_fp_ieee_inexact 0
		.amdhsa_exception_int_div_zero 0
	.end_amdhsa_kernel
	.section	.text._ZL11k_bin_bcastIXadL_ZL6op_mulffEE6__halfS0_S0_JPKS0_S2_EEvPKT0_PKT1_PT2_iii15HIP_vector_typeIjLj3EESC_SC_SC_SC_iiiiiiiiiiiDpT3_,"axG",@progbits,_ZL11k_bin_bcastIXadL_ZL6op_mulffEE6__halfS0_S0_JPKS0_S2_EEvPKT0_PKT1_PT2_iii15HIP_vector_typeIjLj3EESC_SC_SC_SC_iiiiiiiiiiiDpT3_,comdat
.Lfunc_end99:
	.size	_ZL11k_bin_bcastIXadL_ZL6op_mulffEE6__halfS0_S0_JPKS0_S2_EEvPKT0_PKT1_PT2_iii15HIP_vector_typeIjLj3EESC_SC_SC_SC_iiiiiiiiiiiDpT3_, .Lfunc_end99-_ZL11k_bin_bcastIXadL_ZL6op_mulffEE6__halfS0_S0_JPKS0_S2_EEvPKT0_PKT1_PT2_iii15HIP_vector_typeIjLj3EESC_SC_SC_SC_iiiiiiiiiiiDpT3_
                                        ; -- End function
	.section	.AMDGPU.csdata,"",@progbits
; Kernel info:
; codeLenInByte = 896
; NumSgprs: 46
; NumVgprs: 17
; ScratchSize: 0
; MemoryBound: 0
; FloatMode: 240
; IeeeMode: 1
; LDSByteSize: 0 bytes/workgroup (compile time only)
; SGPRBlocks: 5
; VGPRBlocks: 2
; NumSGPRsForWavesPerEU: 46
; NumVGPRsForWavesPerEU: 17
; Occupancy: 16
; WaveLimiterHint : 1
; COMPUTE_PGM_RSRC2:SCRATCH_EN: 0
; COMPUTE_PGM_RSRC2:USER_SGPR: 13
; COMPUTE_PGM_RSRC2:TRAP_HANDLER: 0
; COMPUTE_PGM_RSRC2:TGID_X_EN: 1
; COMPUTE_PGM_RSRC2:TGID_Y_EN: 1
; COMPUTE_PGM_RSRC2:TGID_Z_EN: 1
; COMPUTE_PGM_RSRC2:TIDIG_COMP_CNT: 2
	.section	.text._ZL19k_bin_bcast_unravelIXadL_ZL6op_mulffEE6__halffS0_JPKfS2_EEvPKT0_PKT1_PT2_15HIP_vector_typeIjLj3EESC_SC_jSC_SC_SC_SC_SC_SC_iiiiiiiiiiiDpT3_,"axG",@progbits,_ZL19k_bin_bcast_unravelIXadL_ZL6op_mulffEE6__halffS0_JPKfS2_EEvPKT0_PKT1_PT2_15HIP_vector_typeIjLj3EESC_SC_jSC_SC_SC_SC_SC_SC_iiiiiiiiiiiDpT3_,comdat
	.globl	_ZL19k_bin_bcast_unravelIXadL_ZL6op_mulffEE6__halffS0_JPKfS2_EEvPKT0_PKT1_PT2_15HIP_vector_typeIjLj3EESC_SC_jSC_SC_SC_SC_SC_SC_iiiiiiiiiiiDpT3_ ; -- Begin function _ZL19k_bin_bcast_unravelIXadL_ZL6op_mulffEE6__halffS0_JPKfS2_EEvPKT0_PKT1_PT2_15HIP_vector_typeIjLj3EESC_SC_jSC_SC_SC_SC_SC_SC_iiiiiiiiiiiDpT3_
	.p2align	8
	.type	_ZL19k_bin_bcast_unravelIXadL_ZL6op_mulffEE6__halffS0_JPKfS2_EEvPKT0_PKT1_PT2_15HIP_vector_typeIjLj3EESC_SC_jSC_SC_SC_SC_SC_SC_iiiiiiiiiiiDpT3_,@function
_ZL19k_bin_bcast_unravelIXadL_ZL6op_mulffEE6__halffS0_JPKfS2_EEvPKT0_PKT1_PT2_15HIP_vector_typeIjLj3EESC_SC_jSC_SC_SC_SC_SC_SC_iiiiiiiiiiiDpT3_: ; @_ZL19k_bin_bcast_unravelIXadL_ZL6op_mulffEE6__halffS0_JPKfS2_EEvPKT0_PKT1_PT2_15HIP_vector_typeIjLj3EESC_SC_jSC_SC_SC_SC_SC_SC_iiiiiiiiiiiDpT3_
; %bb.0:
	s_clause 0x1
	s_load_b32 s2, s[0:1], 0xd4
	s_load_b256 s[4:11], s[0:1], 0x38
	s_waitcnt lgkmcnt(0)
	s_and_b32 s2, s2, 0xffff
	s_delay_alu instid0(SALU_CYCLE_1) | instskip(SKIP_3) | instid1(VALU_DEP_1)
	v_mad_u64_u32 v[2:3], null, s15, s2, v[0:1]
	s_clause 0x1
	s_load_b128 s[12:15], s[0:1], 0x18
	s_load_b32 s2, s[0:1], 0x2c
	v_mul_hi_u32 v0, v2, s6
	s_delay_alu instid0(VALU_DEP_1) | instskip(NEXT) | instid1(VALU_DEP_1)
	v_add_nc_u32_e32 v0, v2, v0
	v_lshrrev_b32_e32 v1, s7, v0
	s_delay_alu instid0(VALU_DEP_1) | instskip(NEXT) | instid1(VALU_DEP_1)
	v_mul_lo_u32 v0, v1, s8
	v_sub_nc_u32_e32 v0, v2, v0
	s_delay_alu instid0(VALU_DEP_1) | instskip(NEXT) | instid1(VALU_DEP_1)
	v_mul_hi_u32 v2, v0, s9
	v_add_nc_u32_e32 v2, v0, v2
	s_delay_alu instid0(VALU_DEP_1) | instskip(NEXT) | instid1(VALU_DEP_1)
	v_lshrrev_b32_e32 v2, s10, v2
	v_mul_lo_u32 v3, v2, s11
	v_cmp_gt_u32_e64 s3, s4, v2
	v_cmp_gt_u32_e64 s4, s5, v1
	s_delay_alu instid0(VALU_DEP_3) | instskip(SKIP_1) | instid1(VALU_DEP_1)
	v_sub_nc_u32_e32 v0, v0, v3
	s_waitcnt lgkmcnt(0)
	v_mul_hi_u32 v3, v0, s12
	s_delay_alu instid0(VALU_DEP_1) | instskip(NEXT) | instid1(VALU_DEP_1)
	v_add_nc_u32_e32 v3, v0, v3
	v_lshrrev_b32_e32 v3, s13, v3
	s_delay_alu instid0(VALU_DEP_1) | instskip(SKIP_1) | instid1(VALU_DEP_2)
	v_mul_lo_u32 v4, v3, s14
	v_cmp_gt_u32_e64 s2, s2, v3
	v_sub_nc_u32_e32 v0, v0, v4
	s_delay_alu instid0(VALU_DEP_1) | instskip(NEXT) | instid1(VALU_DEP_3)
	v_cmp_gt_u32_e32 vcc_lo, s14, v0
	s_and_b32 s2, vcc_lo, s2
	s_delay_alu instid0(SALU_CYCLE_1) | instskip(NEXT) | instid1(SALU_CYCLE_1)
	s_and_b32 s2, s2, s3
	s_and_b32 s2, s4, s2
	s_delay_alu instid0(SALU_CYCLE_1)
	s_and_saveexec_b32 s3, s2
	s_cbranch_execz .LBB100_5
; %bb.1:
	s_clause 0x4
	s_load_b64 s[2:3], s[0:1], 0x0
	s_load_b128 s[20:23], s[0:1], 0xa8
	s_load_b256 s[4:11], s[0:1], 0x88
	s_load_b128 s[24:27], s[0:1], 0x78
	s_load_b256 s[12:19], s[0:1], 0x58
	s_waitcnt lgkmcnt(0)
	s_cmp_eq_u64 s[2:3], 0
	s_cbranch_scc1 .LBB100_3
; %bb.2:
	v_mul_lo_u32 v4, v1, s10
	v_mul_lo_u32 v6, v2, s9
	;; [unrolled: 1-line block ×3, first 2 shown]
	v_mov_b32_e32 v5, 0
	s_delay_alu instid0(VALU_DEP_2) | instskip(NEXT) | instid1(VALU_DEP_1)
	v_add3_u32 v4, v6, v4, v7
	v_lshlrev_b64 v[6:7], 1, v[4:5]
	v_mul_lo_u32 v4, v0, s7
	s_delay_alu instid0(VALU_DEP_2) | instskip(NEXT) | instid1(VALU_DEP_3)
	v_add_co_u32 v6, vcc_lo, s2, v6
	v_add_co_ci_u32_e32 v7, vcc_lo, s3, v7, vcc_lo
	s_delay_alu instid0(VALU_DEP_3) | instskip(NEXT) | instid1(VALU_DEP_1)
	v_lshlrev_b64 v[4:5], 1, v[4:5]
	v_add_co_u32 v4, vcc_lo, v6, v4
	s_delay_alu instid0(VALU_DEP_2)
	v_add_co_ci_u32_e32 v5, vcc_lo, v7, v5, vcc_lo
	global_load_u16 v4, v[4:5], off
	s_waitcnt vmcnt(0)
	v_cvt_f32_f16_e32 v4, v4
	s_branch .LBB100_4
.LBB100_3:
	v_mov_b32_e32 v4, 0
.LBB100_4:
	v_mul_hi_u32 v5, s25, v1
	v_mul_hi_u32 v6, s18, v2
	;; [unrolled: 1-line block ×4, first 2 shown]
	s_delay_alu instid0(VALU_DEP_4) | instskip(NEXT) | instid1(VALU_DEP_4)
	v_add_nc_u32_e32 v5, v1, v5
	v_add_nc_u32_e32 v6, v2, v6
	s_delay_alu instid0(VALU_DEP_4) | instskip(NEXT) | instid1(VALU_DEP_4)
	v_add_nc_u32_e32 v7, v3, v7
	v_add_nc_u32_e32 v8, v0, v8
	s_delay_alu instid0(VALU_DEP_4) | instskip(NEXT) | instid1(VALU_DEP_4)
	v_lshrrev_b32_e32 v5, s26, v5
	v_lshrrev_b32_e32 v6, s19, v6
	s_delay_alu instid0(VALU_DEP_4) | instskip(NEXT) | instid1(VALU_DEP_4)
	v_lshrrev_b32_e32 v7, s16, v7
	v_lshrrev_b32_e32 v8, s13, v8
	s_delay_alu instid0(VALU_DEP_4) | instskip(NEXT) | instid1(VALU_DEP_4)
	v_mul_lo_u32 v5, v5, s27
	v_mul_lo_u32 v6, v6, s24
	s_delay_alu instid0(VALU_DEP_4) | instskip(NEXT) | instid1(VALU_DEP_4)
	v_mul_lo_u32 v7, v7, s17
	v_mul_lo_u32 v8, v8, s14
	s_delay_alu instid0(VALU_DEP_4) | instskip(NEXT) | instid1(VALU_DEP_4)
	v_sub_nc_u32_e32 v5, v1, v5
	v_sub_nc_u32_e32 v6, v2, v6
	s_delay_alu instid0(VALU_DEP_4) | instskip(NEXT) | instid1(VALU_DEP_4)
	v_sub_nc_u32_e32 v7, v3, v7
	v_sub_nc_u32_e32 v8, v0, v8
	v_mul_lo_u32 v1, v1, s6
	v_mul_lo_u32 v5, v5, s22
	;; [unrolled: 1-line block ×5, first 2 shown]
	s_clause 0x1
	s_load_b128 s[8:11], s[0:1], 0xb8
	s_load_b64 s[0:1], s[0:1], 0x10
	v_mul_lo_u32 v2, v2, s5
	s_delay_alu instid0(VALU_DEP_3) | instskip(NEXT) | instid1(VALU_DEP_3)
	v_add3_u32 v5, v6, v5, v7
	v_ashrrev_i32_e32 v6, 31, v8
	s_delay_alu instid0(VALU_DEP_2) | instskip(SKIP_1) | instid1(VALU_DEP_2)
	v_ashrrev_i32_e32 v7, 31, v5
	v_add_co_u32 v5, vcc_lo, v8, v5
	v_add_co_ci_u32_e32 v6, vcc_lo, v6, v7, vcc_lo
	s_delay_alu instid0(VALU_DEP_1) | instskip(SKIP_1) | instid1(VALU_DEP_1)
	v_lshlrev_b64 v[5:6], 2, v[5:6]
	s_waitcnt lgkmcnt(0)
	v_add_co_u32 v7, vcc_lo, s8, v5
	s_delay_alu instid0(VALU_DEP_2)
	v_add_co_ci_u32_e32 v8, vcc_lo, s9, v6, vcc_lo
	v_add_co_u32 v5, vcc_lo, s10, v5
	v_add_co_ci_u32_e32 v6, vcc_lo, s11, v6, vcc_lo
	global_load_b32 v7, v[7:8], off
	global_load_b32 v5, v[5:6], off
	v_mul_lo_u32 v6, v3, s4
	v_mov_b32_e32 v3, 0
	s_delay_alu instid0(VALU_DEP_2) | instskip(NEXT) | instid1(VALU_DEP_2)
	v_add3_u32 v2, v2, v1, v6
	v_mov_b32_e32 v1, v3
	s_delay_alu instid0(VALU_DEP_2) | instskip(NEXT) | instid1(VALU_DEP_2)
	v_lshlrev_b64 v[2:3], 1, v[2:3]
	v_lshlrev_b64 v[0:1], 1, v[0:1]
	s_delay_alu instid0(VALU_DEP_2) | instskip(NEXT) | instid1(VALU_DEP_3)
	v_add_co_u32 v2, vcc_lo, s0, v2
	v_add_co_ci_u32_e32 v3, vcc_lo, s1, v3, vcc_lo
	s_delay_alu instid0(VALU_DEP_2) | instskip(NEXT) | instid1(VALU_DEP_2)
	v_add_co_u32 v0, vcc_lo, v2, v0
	v_add_co_ci_u32_e32 v1, vcc_lo, v3, v1, vcc_lo
	s_waitcnt vmcnt(1)
	v_mul_f32_e32 v4, v4, v7
	s_waitcnt vmcnt(0)
	s_delay_alu instid0(VALU_DEP_1)
	v_fma_mixlo_f16 v4, v4, v5, 0
	global_store_b16 v[0:1], v4, off
.LBB100_5:
	s_nop 0
	s_sendmsg sendmsg(MSG_DEALLOC_VGPRS)
	s_endpgm
	.section	.rodata,"a",@progbits
	.p2align	6, 0x0
	.amdhsa_kernel _ZL19k_bin_bcast_unravelIXadL_ZL6op_mulffEE6__halffS0_JPKfS2_EEvPKT0_PKT1_PT2_15HIP_vector_typeIjLj3EESC_SC_jSC_SC_SC_SC_SC_SC_iiiiiiiiiiiDpT3_
		.amdhsa_group_segment_fixed_size 0
		.amdhsa_private_segment_fixed_size 0
		.amdhsa_kernarg_size 456
		.amdhsa_user_sgpr_count 15
		.amdhsa_user_sgpr_dispatch_ptr 0
		.amdhsa_user_sgpr_queue_ptr 0
		.amdhsa_user_sgpr_kernarg_segment_ptr 1
		.amdhsa_user_sgpr_dispatch_id 0
		.amdhsa_user_sgpr_private_segment_size 0
		.amdhsa_wavefront_size32 1
		.amdhsa_uses_dynamic_stack 0
		.amdhsa_enable_private_segment 0
		.amdhsa_system_sgpr_workgroup_id_x 1
		.amdhsa_system_sgpr_workgroup_id_y 0
		.amdhsa_system_sgpr_workgroup_id_z 0
		.amdhsa_system_sgpr_workgroup_info 0
		.amdhsa_system_vgpr_workitem_id 0
		.amdhsa_next_free_vgpr 9
		.amdhsa_next_free_sgpr 28
		.amdhsa_reserve_vcc 1
		.amdhsa_float_round_mode_32 0
		.amdhsa_float_round_mode_16_64 0
		.amdhsa_float_denorm_mode_32 3
		.amdhsa_float_denorm_mode_16_64 3
		.amdhsa_dx10_clamp 1
		.amdhsa_ieee_mode 1
		.amdhsa_fp16_overflow 0
		.amdhsa_workgroup_processor_mode 1
		.amdhsa_memory_ordered 1
		.amdhsa_forward_progress 0
		.amdhsa_shared_vgpr_count 0
		.amdhsa_exception_fp_ieee_invalid_op 0
		.amdhsa_exception_fp_denorm_src 0
		.amdhsa_exception_fp_ieee_div_zero 0
		.amdhsa_exception_fp_ieee_overflow 0
		.amdhsa_exception_fp_ieee_underflow 0
		.amdhsa_exception_fp_ieee_inexact 0
		.amdhsa_exception_int_div_zero 0
	.end_amdhsa_kernel
	.section	.text._ZL19k_bin_bcast_unravelIXadL_ZL6op_mulffEE6__halffS0_JPKfS2_EEvPKT0_PKT1_PT2_15HIP_vector_typeIjLj3EESC_SC_jSC_SC_SC_SC_SC_SC_iiiiiiiiiiiDpT3_,"axG",@progbits,_ZL19k_bin_bcast_unravelIXadL_ZL6op_mulffEE6__halffS0_JPKfS2_EEvPKT0_PKT1_PT2_15HIP_vector_typeIjLj3EESC_SC_jSC_SC_SC_SC_SC_SC_iiiiiiiiiiiDpT3_,comdat
.Lfunc_end100:
	.size	_ZL19k_bin_bcast_unravelIXadL_ZL6op_mulffEE6__halffS0_JPKfS2_EEvPKT0_PKT1_PT2_15HIP_vector_typeIjLj3EESC_SC_jSC_SC_SC_SC_SC_SC_iiiiiiiiiiiDpT3_, .Lfunc_end100-_ZL19k_bin_bcast_unravelIXadL_ZL6op_mulffEE6__halffS0_JPKfS2_EEvPKT0_PKT1_PT2_15HIP_vector_typeIjLj3EESC_SC_jSC_SC_SC_SC_SC_SC_iiiiiiiiiiiDpT3_
                                        ; -- End function
	.section	.AMDGPU.csdata,"",@progbits
; Kernel info:
; codeLenInByte = 852
; NumSgprs: 30
; NumVgprs: 9
; ScratchSize: 0
; MemoryBound: 0
; FloatMode: 240
; IeeeMode: 1
; LDSByteSize: 0 bytes/workgroup (compile time only)
; SGPRBlocks: 3
; VGPRBlocks: 1
; NumSGPRsForWavesPerEU: 30
; NumVGPRsForWavesPerEU: 9
; Occupancy: 16
; WaveLimiterHint : 1
; COMPUTE_PGM_RSRC2:SCRATCH_EN: 0
; COMPUTE_PGM_RSRC2:USER_SGPR: 15
; COMPUTE_PGM_RSRC2:TRAP_HANDLER: 0
; COMPUTE_PGM_RSRC2:TGID_X_EN: 1
; COMPUTE_PGM_RSRC2:TGID_Y_EN: 0
; COMPUTE_PGM_RSRC2:TGID_Z_EN: 0
; COMPUTE_PGM_RSRC2:TIDIG_COMP_CNT: 0
	.section	.text._ZL11k_bin_bcastIXadL_ZL6op_mulffEE6__halffS0_JPKfS2_EEvPKT0_PKT1_PT2_iii15HIP_vector_typeIjLj3EESC_SC_SC_SC_iiiiiiiiiiiDpT3_,"axG",@progbits,_ZL11k_bin_bcastIXadL_ZL6op_mulffEE6__halffS0_JPKfS2_EEvPKT0_PKT1_PT2_iii15HIP_vector_typeIjLj3EESC_SC_SC_SC_iiiiiiiiiiiDpT3_,comdat
	.globl	_ZL11k_bin_bcastIXadL_ZL6op_mulffEE6__halffS0_JPKfS2_EEvPKT0_PKT1_PT2_iii15HIP_vector_typeIjLj3EESC_SC_SC_SC_iiiiiiiiiiiDpT3_ ; -- Begin function _ZL11k_bin_bcastIXadL_ZL6op_mulffEE6__halffS0_JPKfS2_EEvPKT0_PKT1_PT2_iii15HIP_vector_typeIjLj3EESC_SC_SC_SC_iiiiiiiiiiiDpT3_
	.p2align	8
	.type	_ZL11k_bin_bcastIXadL_ZL6op_mulffEE6__halffS0_JPKfS2_EEvPKT0_PKT1_PT2_iii15HIP_vector_typeIjLj3EESC_SC_SC_SC_iiiiiiiiiiiDpT3_,@function
_ZL11k_bin_bcastIXadL_ZL6op_mulffEE6__halffS0_JPKfS2_EEvPKT0_PKT1_PT2_iii15HIP_vector_typeIjLj3EESC_SC_SC_SC_iiiiiiiiiiiDpT3_: ; @_ZL11k_bin_bcastIXadL_ZL6op_mulffEE6__halffS0_JPKfS2_EEvPKT0_PKT1_PT2_iii15HIP_vector_typeIjLj3EESC_SC_SC_SC_iiiiiiiiiiiDpT3_
; %bb.0:
	s_clause 0x1
	s_load_b64 s[2:3], s[0:1], 0xac
	s_load_b256 s[16:23], s[0:1], 0x18
	v_bfe_u32 v1, v0, 20, 10
	s_add_u32 s34, s0, 0xa0
	s_addc_u32 s35, s1, 0
	s_waitcnt lgkmcnt(0)
	s_and_b32 s3, s3, 0xffff
	s_and_b32 s12, s2, 0xffff
	v_mad_u64_u32 v[4:5], null, s15, s3, v[1:2]
	v_and_b32_e32 v2, 0x3ff, v0
	v_bfe_u32 v5, v0, 10, 10
	s_lshr_b32 s3, s2, 16
	s_delay_alu instid0(VALU_DEP_3) | instskip(NEXT) | instid1(VALU_DEP_1)
	v_mul_hi_u32 v1, v4, s19
	v_add_nc_u32_e32 v1, v4, v1
	s_delay_alu instid0(VALU_DEP_1) | instskip(NEXT) | instid1(VALU_DEP_1)
	v_lshrrev_b32_e32 v3, s20, v1
	v_mul_lo_u32 v6, v3, s21
	v_mad_u64_u32 v[0:1], null, s13, s12, v[2:3]
	s_delay_alu instid0(VALU_DEP_2) | instskip(SKIP_1) | instid1(VALU_DEP_3)
	v_mad_u64_u32 v[1:2], null, s14, s3, v[5:6]
	v_sub_nc_u32_e32 v4, v4, v6
	v_cmp_gt_u32_e32 vcc_lo, s16, v0
	v_cmp_gt_u32_e64 s3, s18, v3
	s_delay_alu instid0(VALU_DEP_3) | instskip(SKIP_1) | instid1(VALU_DEP_1)
	v_cmp_gt_u32_e64 s4, s21, v4
	v_cmp_gt_u32_e64 s2, s17, v1
	s_and_b32 s2, vcc_lo, s2
	s_delay_alu instid0(VALU_DEP_3) | instid1(SALU_CYCLE_1)
	s_and_b32 s2, s2, s3
	s_delay_alu instid0(VALU_DEP_2) | instid1(SALU_CYCLE_1)
	s_and_b32 s2, s2, s4
	s_delay_alu instid0(SALU_CYCLE_1)
	s_and_saveexec_b32 s3, s2
	s_cbranch_execz .LBB101_6
; %bb.1:
	v_cmp_gt_i32_e32 vcc_lo, s16, v0
	s_and_b32 exec_lo, exec_lo, vcc_lo
	s_cbranch_execz .LBB101_6
; %bb.2:
	s_clause 0x4
	s_load_b256 s[36:43], s[0:1], 0x3c
	s_load_b256 s[4:11], s[0:1], 0x60
	;; [unrolled: 1-line block ×3, first 2 shown]
	s_load_b32 s13, s[0:1], 0x5c
	s_load_b64 s[2:3], s[0:1], 0x0
	s_waitcnt lgkmcnt(0)
	v_mul_hi_u32 v2, s36, v1
	v_mul_hi_u32 v5, s39, v3
	;; [unrolled: 1-line block ×3, first 2 shown]
	v_mul_lo_u32 v9, v4, s10
	v_mul_lo_u32 v10, v3, s9
	;; [unrolled: 1-line block ×3, first 2 shown]
	v_mov_b32_e32 v6, 0
	v_mul_lo_u32 v13, v3, s5
	v_add_nc_u32_e32 v2, v1, v2
	v_add_nc_u32_e32 v5, v3, v5
	s_delay_alu instid0(VALU_DEP_4)
	v_dual_mov_b32 v8, v6 :: v_dual_add_nc_u32 v7, v4, v7
	s_clause 0x1
	s_load_b32 s5, s[0:1], 0x38
	s_load_b64 s[0:1], s[0:1], 0x10
	v_lshrrev_b32_e32 v2, s37, v2
	v_lshrrev_b32_e32 v15, s40, v5
	;; [unrolled: 1-line block ×3, first 2 shown]
	v_add3_u32 v5, v10, v11, v9
	v_mul_lo_u32 v12, v4, s6
	v_mul_lo_u32 v14, v1, s4
	;; [unrolled: 1-line block ×5, first 2 shown]
	s_load_b32 s4, s[34:35], 0x0
	v_lshlrev_b64 v[5:6], 1, v[5:6]
	s_cmp_lg_u64 s[2:3], 0
	v_mul_lo_u32 v2, s7, v0
	v_add3_u32 v7, v13, v14, v12
	v_sub_nc_u32_e32 v1, v1, v9
	v_sub_nc_u32_e32 v3, v3, v10
	;; [unrolled: 1-line block ×3, first 2 shown]
	v_add_co_u32 v9, vcc_lo, s2, v5
	v_add_co_ci_u32_e32 v5, vcc_lo, s3, v6, vcc_lo
	v_lshlrev_b64 v[7:8], 1, v[7:8]
	s_delay_alu instid0(VALU_DEP_4)
	v_mul_lo_u32 v10, v4, s26
	v_mul_lo_u32 v3, v3, s25
	;; [unrolled: 1-line block ×3, first 2 shown]
	s_cselect_b32 vcc_lo, -1, 0
	s_mov_b32 s3, 0
	v_cndmask_b32_e32 v5, 0, v5, vcc_lo
	v_cndmask_b32_e32 v4, 0, v9, vcc_lo
	s_waitcnt lgkmcnt(0)
	v_add_co_u32 v6, vcc_lo, s0, v7
	v_add_co_ci_u32_e32 v7, vcc_lo, s1, v8, vcc_lo
	s_delay_alu instid0(VALU_DEP_3)
	v_cmp_ne_u64_e32 vcc_lo, 0, v[4:5]
	v_add3_u32 v8, v3, v10, v1
	s_mul_i32 s2, s4, s12
	s_sub_i32 s5, 0, s5
	s_mul_i32 s4, s2, s7
	s_branch .LBB101_4
.LBB101_3:                              ;   in Loop: Header=BB101_4 Depth=1
	s_or_b32 exec_lo, exec_lo, s1
	v_mul_hi_u32 v1, s22, v0
	v_add_nc_u32_e32 v2, s4, v2
	s_delay_alu instid0(VALU_DEP_2) | instskip(NEXT) | instid1(VALU_DEP_1)
	v_add_nc_u32_e32 v1, v0, v1
	v_lshrrev_b32_e32 v1, s23, v1
	s_delay_alu instid0(VALU_DEP_1) | instskip(NEXT) | instid1(VALU_DEP_1)
	v_mad_u64_u32 v[9:10], null, s5, v1, v[0:1]
	v_mul_lo_u32 v1, v9, s11
	s_delay_alu instid0(VALU_DEP_1) | instskip(NEXT) | instid1(VALU_DEP_1)
	v_add_co_u32 v9, s0, v1, v8
	v_add_co_ci_u32_e64 v10, null, 0, 0, s0
	v_ashrrev_i32_e32 v1, 31, v0
	s_delay_alu instid0(VALU_DEP_2) | instskip(NEXT) | instid1(VALU_DEP_1)
	v_lshlrev_b64 v[9:10], 2, v[9:10]
	v_add_co_u32 v11, s0, s28, v9
	s_delay_alu instid0(VALU_DEP_1) | instskip(SKIP_1) | instid1(VALU_DEP_1)
	v_add_co_ci_u32_e64 v12, s0, s29, v10, s0
	v_add_co_u32 v9, s0, s30, v9
	v_add_co_ci_u32_e64 v10, s0, s31, v10, s0
	global_load_b32 v11, v[11:12], off
	global_load_b32 v12, v[9:10], off
	v_lshlrev_b64 v[9:10], 1, v[0:1]
	v_add_nc_u32_e32 v0, s2, v0
	s_delay_alu instid0(VALU_DEP_2) | instskip(NEXT) | instid1(VALU_DEP_1)
	v_add_co_u32 v9, s1, v6, v9
	v_add_co_ci_u32_e64 v10, s1, v7, v10, s1
	s_waitcnt vmcnt(1)
	v_mul_f32_e32 v1, v3, v11
	v_cmp_le_i32_e64 s0, s16, v0
	s_waitcnt vmcnt(0)
	s_delay_alu instid0(VALU_DEP_2) | instskip(NEXT) | instid1(VALU_DEP_2)
	v_fma_mixlo_f16 v1, v1, v12, 0
	s_or_b32 s3, s0, s3
	global_store_b16 v[9:10], v1, off
	s_and_not1_b32 exec_lo, exec_lo, s3
	s_cbranch_execz .LBB101_6
.LBB101_4:                              ; =>This Inner Loop Header: Depth=1
	v_mov_b32_e32 v3, 0
	s_and_saveexec_b32 s1, vcc_lo
	s_cbranch_execz .LBB101_3
; %bb.5:                                ;   in Loop: Header=BB101_4 Depth=1
	v_ashrrev_i32_e32 v3, 31, v2
	s_delay_alu instid0(VALU_DEP_1) | instskip(NEXT) | instid1(VALU_DEP_1)
	v_lshlrev_b64 v[9:10], 1, v[2:3]
	v_add_co_u32 v9, s0, v4, v9
	s_delay_alu instid0(VALU_DEP_1)
	v_add_co_ci_u32_e64 v10, s0, v5, v10, s0
	global_load_u16 v1, v[9:10], off
	s_waitcnt vmcnt(0)
	v_cvt_f32_f16_e32 v3, v1
	s_branch .LBB101_3
.LBB101_6:
	s_nop 0
	s_sendmsg sendmsg(MSG_DEALLOC_VGPRS)
	s_endpgm
	.section	.rodata,"a",@progbits
	.p2align	6, 0x0
	.amdhsa_kernel _ZL11k_bin_bcastIXadL_ZL6op_mulffEE6__halffS0_JPKfS2_EEvPKT0_PKT1_PT2_iii15HIP_vector_typeIjLj3EESC_SC_SC_SC_iiiiiiiiiiiDpT3_
		.amdhsa_group_segment_fixed_size 0
		.amdhsa_private_segment_fixed_size 0
		.amdhsa_kernarg_size 416
		.amdhsa_user_sgpr_count 13
		.amdhsa_user_sgpr_dispatch_ptr 0
		.amdhsa_user_sgpr_queue_ptr 0
		.amdhsa_user_sgpr_kernarg_segment_ptr 1
		.amdhsa_user_sgpr_dispatch_id 0
		.amdhsa_user_sgpr_private_segment_size 0
		.amdhsa_wavefront_size32 1
		.amdhsa_uses_dynamic_stack 0
		.amdhsa_enable_private_segment 0
		.amdhsa_system_sgpr_workgroup_id_x 1
		.amdhsa_system_sgpr_workgroup_id_y 1
		.amdhsa_system_sgpr_workgroup_id_z 1
		.amdhsa_system_sgpr_workgroup_info 0
		.amdhsa_system_vgpr_workitem_id 2
		.amdhsa_next_free_vgpr 17
		.amdhsa_next_free_sgpr 44
		.amdhsa_reserve_vcc 1
		.amdhsa_float_round_mode_32 0
		.amdhsa_float_round_mode_16_64 0
		.amdhsa_float_denorm_mode_32 3
		.amdhsa_float_denorm_mode_16_64 3
		.amdhsa_dx10_clamp 1
		.amdhsa_ieee_mode 1
		.amdhsa_fp16_overflow 0
		.amdhsa_workgroup_processor_mode 1
		.amdhsa_memory_ordered 1
		.amdhsa_forward_progress 0
		.amdhsa_shared_vgpr_count 0
		.amdhsa_exception_fp_ieee_invalid_op 0
		.amdhsa_exception_fp_denorm_src 0
		.amdhsa_exception_fp_ieee_div_zero 0
		.amdhsa_exception_fp_ieee_overflow 0
		.amdhsa_exception_fp_ieee_underflow 0
		.amdhsa_exception_fp_ieee_inexact 0
		.amdhsa_exception_int_div_zero 0
	.end_amdhsa_kernel
	.section	.text._ZL11k_bin_bcastIXadL_ZL6op_mulffEE6__halffS0_JPKfS2_EEvPKT0_PKT1_PT2_iii15HIP_vector_typeIjLj3EESC_SC_SC_SC_iiiiiiiiiiiDpT3_,"axG",@progbits,_ZL11k_bin_bcastIXadL_ZL6op_mulffEE6__halffS0_JPKfS2_EEvPKT0_PKT1_PT2_iii15HIP_vector_typeIjLj3EESC_SC_SC_SC_iiiiiiiiiiiDpT3_,comdat
.Lfunc_end101:
	.size	_ZL11k_bin_bcastIXadL_ZL6op_mulffEE6__halffS0_JPKfS2_EEvPKT0_PKT1_PT2_iii15HIP_vector_typeIjLj3EESC_SC_SC_SC_iiiiiiiiiiiDpT3_, .Lfunc_end101-_ZL11k_bin_bcastIXadL_ZL6op_mulffEE6__halffS0_JPKfS2_EEvPKT0_PKT1_PT2_iii15HIP_vector_typeIjLj3EESC_SC_SC_SC_iiiiiiiiiiiDpT3_
                                        ; -- End function
	.section	.AMDGPU.csdata,"",@progbits
; Kernel info:
; codeLenInByte = 888
; NumSgprs: 46
; NumVgprs: 17
; ScratchSize: 0
; MemoryBound: 0
; FloatMode: 240
; IeeeMode: 1
; LDSByteSize: 0 bytes/workgroup (compile time only)
; SGPRBlocks: 5
; VGPRBlocks: 2
; NumSGPRsForWavesPerEU: 46
; NumVGPRsForWavesPerEU: 17
; Occupancy: 16
; WaveLimiterHint : 1
; COMPUTE_PGM_RSRC2:SCRATCH_EN: 0
; COMPUTE_PGM_RSRC2:USER_SGPR: 13
; COMPUTE_PGM_RSRC2:TRAP_HANDLER: 0
; COMPUTE_PGM_RSRC2:TGID_X_EN: 1
; COMPUTE_PGM_RSRC2:TGID_Y_EN: 1
; COMPUTE_PGM_RSRC2:TGID_Z_EN: 1
; COMPUTE_PGM_RSRC2:TIDIG_COMP_CNT: 2
	.section	.text._ZL19k_bin_bcast_unravelIXadL_ZL6op_mulffEE6__halfffJPKfS2_EEvPKT0_PKT1_PT2_15HIP_vector_typeIjLj3EESC_SC_jSC_SC_SC_SC_SC_SC_iiiiiiiiiiiDpT3_,"axG",@progbits,_ZL19k_bin_bcast_unravelIXadL_ZL6op_mulffEE6__halfffJPKfS2_EEvPKT0_PKT1_PT2_15HIP_vector_typeIjLj3EESC_SC_jSC_SC_SC_SC_SC_SC_iiiiiiiiiiiDpT3_,comdat
	.globl	_ZL19k_bin_bcast_unravelIXadL_ZL6op_mulffEE6__halfffJPKfS2_EEvPKT0_PKT1_PT2_15HIP_vector_typeIjLj3EESC_SC_jSC_SC_SC_SC_SC_SC_iiiiiiiiiiiDpT3_ ; -- Begin function _ZL19k_bin_bcast_unravelIXadL_ZL6op_mulffEE6__halfffJPKfS2_EEvPKT0_PKT1_PT2_15HIP_vector_typeIjLj3EESC_SC_jSC_SC_SC_SC_SC_SC_iiiiiiiiiiiDpT3_
	.p2align	8
	.type	_ZL19k_bin_bcast_unravelIXadL_ZL6op_mulffEE6__halfffJPKfS2_EEvPKT0_PKT1_PT2_15HIP_vector_typeIjLj3EESC_SC_jSC_SC_SC_SC_SC_SC_iiiiiiiiiiiDpT3_,@function
_ZL19k_bin_bcast_unravelIXadL_ZL6op_mulffEE6__halfffJPKfS2_EEvPKT0_PKT1_PT2_15HIP_vector_typeIjLj3EESC_SC_jSC_SC_SC_SC_SC_SC_iiiiiiiiiiiDpT3_: ; @_ZL19k_bin_bcast_unravelIXadL_ZL6op_mulffEE6__halfffJPKfS2_EEvPKT0_PKT1_PT2_15HIP_vector_typeIjLj3EESC_SC_jSC_SC_SC_SC_SC_SC_iiiiiiiiiiiDpT3_
; %bb.0:
	s_clause 0x1
	s_load_b32 s2, s[0:1], 0xd4
	s_load_b256 s[4:11], s[0:1], 0x38
	s_waitcnt lgkmcnt(0)
	s_and_b32 s2, s2, 0xffff
	s_delay_alu instid0(SALU_CYCLE_1) | instskip(SKIP_3) | instid1(VALU_DEP_1)
	v_mad_u64_u32 v[2:3], null, s15, s2, v[0:1]
	s_clause 0x1
	s_load_b128 s[12:15], s[0:1], 0x18
	s_load_b32 s2, s[0:1], 0x2c
	v_mul_hi_u32 v0, v2, s6
	s_delay_alu instid0(VALU_DEP_1) | instskip(NEXT) | instid1(VALU_DEP_1)
	v_add_nc_u32_e32 v0, v2, v0
	v_lshrrev_b32_e32 v1, s7, v0
	s_delay_alu instid0(VALU_DEP_1) | instskip(NEXT) | instid1(VALU_DEP_1)
	v_mul_lo_u32 v0, v1, s8
	v_sub_nc_u32_e32 v0, v2, v0
	s_delay_alu instid0(VALU_DEP_1) | instskip(NEXT) | instid1(VALU_DEP_1)
	v_mul_hi_u32 v2, v0, s9
	v_add_nc_u32_e32 v2, v0, v2
	s_delay_alu instid0(VALU_DEP_1) | instskip(NEXT) | instid1(VALU_DEP_1)
	v_lshrrev_b32_e32 v2, s10, v2
	v_mul_lo_u32 v3, v2, s11
	v_cmp_gt_u32_e64 s3, s4, v2
	v_cmp_gt_u32_e64 s4, s5, v1
	s_delay_alu instid0(VALU_DEP_3) | instskip(SKIP_1) | instid1(VALU_DEP_1)
	v_sub_nc_u32_e32 v0, v0, v3
	s_waitcnt lgkmcnt(0)
	v_mul_hi_u32 v3, v0, s12
	s_delay_alu instid0(VALU_DEP_1) | instskip(NEXT) | instid1(VALU_DEP_1)
	v_add_nc_u32_e32 v3, v0, v3
	v_lshrrev_b32_e32 v3, s13, v3
	s_delay_alu instid0(VALU_DEP_1) | instskip(SKIP_1) | instid1(VALU_DEP_2)
	v_mul_lo_u32 v4, v3, s14
	v_cmp_gt_u32_e64 s2, s2, v3
	v_sub_nc_u32_e32 v0, v0, v4
	s_delay_alu instid0(VALU_DEP_1) | instskip(NEXT) | instid1(VALU_DEP_3)
	v_cmp_gt_u32_e32 vcc_lo, s14, v0
	s_and_b32 s2, vcc_lo, s2
	s_delay_alu instid0(SALU_CYCLE_1) | instskip(NEXT) | instid1(SALU_CYCLE_1)
	s_and_b32 s2, s2, s3
	s_and_b32 s2, s4, s2
	s_delay_alu instid0(SALU_CYCLE_1)
	s_and_saveexec_b32 s3, s2
	s_cbranch_execz .LBB102_5
; %bb.1:
	s_clause 0x4
	s_load_b64 s[2:3], s[0:1], 0x0
	s_load_b128 s[20:23], s[0:1], 0xa8
	s_load_b256 s[4:11], s[0:1], 0x88
	s_load_b128 s[24:27], s[0:1], 0x78
	s_load_b256 s[12:19], s[0:1], 0x58
	s_waitcnt lgkmcnt(0)
	s_cmp_eq_u64 s[2:3], 0
	s_cbranch_scc1 .LBB102_3
; %bb.2:
	v_mul_lo_u32 v4, v1, s10
	v_mul_lo_u32 v6, v2, s9
	;; [unrolled: 1-line block ×3, first 2 shown]
	v_mov_b32_e32 v5, 0
	s_delay_alu instid0(VALU_DEP_2) | instskip(NEXT) | instid1(VALU_DEP_1)
	v_add3_u32 v4, v6, v4, v7
	v_lshlrev_b64 v[6:7], 1, v[4:5]
	v_mul_lo_u32 v4, v0, s7
	s_delay_alu instid0(VALU_DEP_2) | instskip(NEXT) | instid1(VALU_DEP_3)
	v_add_co_u32 v6, vcc_lo, s2, v6
	v_add_co_ci_u32_e32 v7, vcc_lo, s3, v7, vcc_lo
	s_delay_alu instid0(VALU_DEP_3) | instskip(NEXT) | instid1(VALU_DEP_1)
	v_lshlrev_b64 v[4:5], 1, v[4:5]
	v_add_co_u32 v4, vcc_lo, v6, v4
	s_delay_alu instid0(VALU_DEP_2)
	v_add_co_ci_u32_e32 v5, vcc_lo, v7, v5, vcc_lo
	global_load_u16 v4, v[4:5], off
	s_waitcnt vmcnt(0)
	v_cvt_f32_f16_e32 v4, v4
	s_branch .LBB102_4
.LBB102_3:
	v_mov_b32_e32 v4, 0
.LBB102_4:
	v_mul_hi_u32 v5, s25, v1
	v_mul_hi_u32 v6, s18, v2
	;; [unrolled: 1-line block ×4, first 2 shown]
	s_delay_alu instid0(VALU_DEP_4) | instskip(NEXT) | instid1(VALU_DEP_4)
	v_add_nc_u32_e32 v5, v1, v5
	v_add_nc_u32_e32 v6, v2, v6
	s_delay_alu instid0(VALU_DEP_4) | instskip(NEXT) | instid1(VALU_DEP_4)
	v_add_nc_u32_e32 v7, v3, v7
	v_add_nc_u32_e32 v8, v0, v8
	s_delay_alu instid0(VALU_DEP_4) | instskip(NEXT) | instid1(VALU_DEP_4)
	v_lshrrev_b32_e32 v5, s26, v5
	v_lshrrev_b32_e32 v6, s19, v6
	s_delay_alu instid0(VALU_DEP_4) | instskip(NEXT) | instid1(VALU_DEP_4)
	v_lshrrev_b32_e32 v7, s16, v7
	v_lshrrev_b32_e32 v8, s13, v8
	s_delay_alu instid0(VALU_DEP_4) | instskip(NEXT) | instid1(VALU_DEP_4)
	v_mul_lo_u32 v5, v5, s27
	v_mul_lo_u32 v6, v6, s24
	s_delay_alu instid0(VALU_DEP_4) | instskip(NEXT) | instid1(VALU_DEP_4)
	v_mul_lo_u32 v7, v7, s17
	v_mul_lo_u32 v8, v8, s14
	s_delay_alu instid0(VALU_DEP_4) | instskip(NEXT) | instid1(VALU_DEP_4)
	v_sub_nc_u32_e32 v5, v1, v5
	v_sub_nc_u32_e32 v6, v2, v6
	s_delay_alu instid0(VALU_DEP_4) | instskip(NEXT) | instid1(VALU_DEP_4)
	v_sub_nc_u32_e32 v7, v3, v7
	v_sub_nc_u32_e32 v8, v0, v8
	v_mul_lo_u32 v1, v1, s6
	v_mul_lo_u32 v5, v5, s22
	;; [unrolled: 1-line block ×5, first 2 shown]
	s_clause 0x1
	s_load_b128 s[8:11], s[0:1], 0xb8
	s_load_b64 s[0:1], s[0:1], 0x10
	v_mul_lo_u32 v2, v2, s5
	s_delay_alu instid0(VALU_DEP_3) | instskip(NEXT) | instid1(VALU_DEP_3)
	v_add3_u32 v5, v6, v5, v7
	v_ashrrev_i32_e32 v6, 31, v8
	s_delay_alu instid0(VALU_DEP_2) | instskip(SKIP_1) | instid1(VALU_DEP_2)
	v_ashrrev_i32_e32 v7, 31, v5
	v_add_co_u32 v5, vcc_lo, v8, v5
	v_add_co_ci_u32_e32 v6, vcc_lo, v6, v7, vcc_lo
	s_delay_alu instid0(VALU_DEP_1) | instskip(SKIP_1) | instid1(VALU_DEP_1)
	v_lshlrev_b64 v[5:6], 2, v[5:6]
	s_waitcnt lgkmcnt(0)
	v_add_co_u32 v7, vcc_lo, s8, v5
	s_delay_alu instid0(VALU_DEP_2)
	v_add_co_ci_u32_e32 v8, vcc_lo, s9, v6, vcc_lo
	v_add_co_u32 v5, vcc_lo, s10, v5
	v_add_co_ci_u32_e32 v6, vcc_lo, s11, v6, vcc_lo
	global_load_b32 v7, v[7:8], off
	global_load_b32 v5, v[5:6], off
	v_mul_lo_u32 v6, v3, s4
	v_mov_b32_e32 v3, 0
	s_delay_alu instid0(VALU_DEP_2) | instskip(NEXT) | instid1(VALU_DEP_2)
	v_add3_u32 v2, v2, v1, v6
	v_mov_b32_e32 v1, v3
	s_delay_alu instid0(VALU_DEP_2) | instskip(NEXT) | instid1(VALU_DEP_2)
	v_lshlrev_b64 v[2:3], 2, v[2:3]
	v_lshlrev_b64 v[0:1], 2, v[0:1]
	s_delay_alu instid0(VALU_DEP_2) | instskip(NEXT) | instid1(VALU_DEP_3)
	v_add_co_u32 v2, vcc_lo, s0, v2
	v_add_co_ci_u32_e32 v3, vcc_lo, s1, v3, vcc_lo
	s_delay_alu instid0(VALU_DEP_2) | instskip(NEXT) | instid1(VALU_DEP_2)
	v_add_co_u32 v0, vcc_lo, v2, v0
	v_add_co_ci_u32_e32 v1, vcc_lo, v3, v1, vcc_lo
	s_waitcnt vmcnt(1)
	v_mul_f32_e32 v4, v4, v7
	s_waitcnt vmcnt(0)
	s_delay_alu instid0(VALU_DEP_1)
	v_mul_f32_e32 v4, v4, v5
	global_store_b32 v[0:1], v4, off
.LBB102_5:
	s_nop 0
	s_sendmsg sendmsg(MSG_DEALLOC_VGPRS)
	s_endpgm
	.section	.rodata,"a",@progbits
	.p2align	6, 0x0
	.amdhsa_kernel _ZL19k_bin_bcast_unravelIXadL_ZL6op_mulffEE6__halfffJPKfS2_EEvPKT0_PKT1_PT2_15HIP_vector_typeIjLj3EESC_SC_jSC_SC_SC_SC_SC_SC_iiiiiiiiiiiDpT3_
		.amdhsa_group_segment_fixed_size 0
		.amdhsa_private_segment_fixed_size 0
		.amdhsa_kernarg_size 456
		.amdhsa_user_sgpr_count 15
		.amdhsa_user_sgpr_dispatch_ptr 0
		.amdhsa_user_sgpr_queue_ptr 0
		.amdhsa_user_sgpr_kernarg_segment_ptr 1
		.amdhsa_user_sgpr_dispatch_id 0
		.amdhsa_user_sgpr_private_segment_size 0
		.amdhsa_wavefront_size32 1
		.amdhsa_uses_dynamic_stack 0
		.amdhsa_enable_private_segment 0
		.amdhsa_system_sgpr_workgroup_id_x 1
		.amdhsa_system_sgpr_workgroup_id_y 0
		.amdhsa_system_sgpr_workgroup_id_z 0
		.amdhsa_system_sgpr_workgroup_info 0
		.amdhsa_system_vgpr_workitem_id 0
		.amdhsa_next_free_vgpr 9
		.amdhsa_next_free_sgpr 28
		.amdhsa_reserve_vcc 1
		.amdhsa_float_round_mode_32 0
		.amdhsa_float_round_mode_16_64 0
		.amdhsa_float_denorm_mode_32 3
		.amdhsa_float_denorm_mode_16_64 3
		.amdhsa_dx10_clamp 1
		.amdhsa_ieee_mode 1
		.amdhsa_fp16_overflow 0
		.amdhsa_workgroup_processor_mode 1
		.amdhsa_memory_ordered 1
		.amdhsa_forward_progress 0
		.amdhsa_shared_vgpr_count 0
		.amdhsa_exception_fp_ieee_invalid_op 0
		.amdhsa_exception_fp_denorm_src 0
		.amdhsa_exception_fp_ieee_div_zero 0
		.amdhsa_exception_fp_ieee_overflow 0
		.amdhsa_exception_fp_ieee_underflow 0
		.amdhsa_exception_fp_ieee_inexact 0
		.amdhsa_exception_int_div_zero 0
	.end_amdhsa_kernel
	.section	.text._ZL19k_bin_bcast_unravelIXadL_ZL6op_mulffEE6__halfffJPKfS2_EEvPKT0_PKT1_PT2_15HIP_vector_typeIjLj3EESC_SC_jSC_SC_SC_SC_SC_SC_iiiiiiiiiiiDpT3_,"axG",@progbits,_ZL19k_bin_bcast_unravelIXadL_ZL6op_mulffEE6__halfffJPKfS2_EEvPKT0_PKT1_PT2_15HIP_vector_typeIjLj3EESC_SC_jSC_SC_SC_SC_SC_SC_iiiiiiiiiiiDpT3_,comdat
.Lfunc_end102:
	.size	_ZL19k_bin_bcast_unravelIXadL_ZL6op_mulffEE6__halfffJPKfS2_EEvPKT0_PKT1_PT2_15HIP_vector_typeIjLj3EESC_SC_jSC_SC_SC_SC_SC_SC_iiiiiiiiiiiDpT3_, .Lfunc_end102-_ZL19k_bin_bcast_unravelIXadL_ZL6op_mulffEE6__halfffJPKfS2_EEvPKT0_PKT1_PT2_15HIP_vector_typeIjLj3EESC_SC_jSC_SC_SC_SC_SC_SC_iiiiiiiiiiiDpT3_
                                        ; -- End function
	.section	.AMDGPU.csdata,"",@progbits
; Kernel info:
; codeLenInByte = 848
; NumSgprs: 30
; NumVgprs: 9
; ScratchSize: 0
; MemoryBound: 0
; FloatMode: 240
; IeeeMode: 1
; LDSByteSize: 0 bytes/workgroup (compile time only)
; SGPRBlocks: 3
; VGPRBlocks: 1
; NumSGPRsForWavesPerEU: 30
; NumVGPRsForWavesPerEU: 9
; Occupancy: 16
; WaveLimiterHint : 1
; COMPUTE_PGM_RSRC2:SCRATCH_EN: 0
; COMPUTE_PGM_RSRC2:USER_SGPR: 15
; COMPUTE_PGM_RSRC2:TRAP_HANDLER: 0
; COMPUTE_PGM_RSRC2:TGID_X_EN: 1
; COMPUTE_PGM_RSRC2:TGID_Y_EN: 0
; COMPUTE_PGM_RSRC2:TGID_Z_EN: 0
; COMPUTE_PGM_RSRC2:TIDIG_COMP_CNT: 0
	.section	.text._ZL11k_bin_bcastIXadL_ZL6op_mulffEE6__halfffJPKfS2_EEvPKT0_PKT1_PT2_iii15HIP_vector_typeIjLj3EESC_SC_SC_SC_iiiiiiiiiiiDpT3_,"axG",@progbits,_ZL11k_bin_bcastIXadL_ZL6op_mulffEE6__halfffJPKfS2_EEvPKT0_PKT1_PT2_iii15HIP_vector_typeIjLj3EESC_SC_SC_SC_iiiiiiiiiiiDpT3_,comdat
	.globl	_ZL11k_bin_bcastIXadL_ZL6op_mulffEE6__halfffJPKfS2_EEvPKT0_PKT1_PT2_iii15HIP_vector_typeIjLj3EESC_SC_SC_SC_iiiiiiiiiiiDpT3_ ; -- Begin function _ZL11k_bin_bcastIXadL_ZL6op_mulffEE6__halfffJPKfS2_EEvPKT0_PKT1_PT2_iii15HIP_vector_typeIjLj3EESC_SC_SC_SC_iiiiiiiiiiiDpT3_
	.p2align	8
	.type	_ZL11k_bin_bcastIXadL_ZL6op_mulffEE6__halfffJPKfS2_EEvPKT0_PKT1_PT2_iii15HIP_vector_typeIjLj3EESC_SC_SC_SC_iiiiiiiiiiiDpT3_,@function
_ZL11k_bin_bcastIXadL_ZL6op_mulffEE6__halfffJPKfS2_EEvPKT0_PKT1_PT2_iii15HIP_vector_typeIjLj3EESC_SC_SC_SC_iiiiiiiiiiiDpT3_: ; @_ZL11k_bin_bcastIXadL_ZL6op_mulffEE6__halfffJPKfS2_EEvPKT0_PKT1_PT2_iii15HIP_vector_typeIjLj3EESC_SC_SC_SC_iiiiiiiiiiiDpT3_
; %bb.0:
	s_clause 0x1
	s_load_b64 s[2:3], s[0:1], 0xac
	s_load_b256 s[16:23], s[0:1], 0x18
	v_bfe_u32 v1, v0, 20, 10
	s_add_u32 s34, s0, 0xa0
	s_addc_u32 s35, s1, 0
	s_waitcnt lgkmcnt(0)
	s_and_b32 s3, s3, 0xffff
	s_and_b32 s12, s2, 0xffff
	v_mad_u64_u32 v[4:5], null, s15, s3, v[1:2]
	v_and_b32_e32 v2, 0x3ff, v0
	v_bfe_u32 v5, v0, 10, 10
	s_lshr_b32 s3, s2, 16
	s_delay_alu instid0(VALU_DEP_3) | instskip(NEXT) | instid1(VALU_DEP_1)
	v_mul_hi_u32 v1, v4, s19
	v_add_nc_u32_e32 v1, v4, v1
	s_delay_alu instid0(VALU_DEP_1) | instskip(NEXT) | instid1(VALU_DEP_1)
	v_lshrrev_b32_e32 v3, s20, v1
	v_mul_lo_u32 v6, v3, s21
	v_mad_u64_u32 v[0:1], null, s13, s12, v[2:3]
	s_delay_alu instid0(VALU_DEP_2) | instskip(SKIP_1) | instid1(VALU_DEP_3)
	v_mad_u64_u32 v[1:2], null, s14, s3, v[5:6]
	v_sub_nc_u32_e32 v4, v4, v6
	v_cmp_gt_u32_e32 vcc_lo, s16, v0
	v_cmp_gt_u32_e64 s3, s18, v3
	s_delay_alu instid0(VALU_DEP_3) | instskip(SKIP_1) | instid1(VALU_DEP_1)
	v_cmp_gt_u32_e64 s4, s21, v4
	v_cmp_gt_u32_e64 s2, s17, v1
	s_and_b32 s2, vcc_lo, s2
	s_delay_alu instid0(VALU_DEP_3) | instid1(SALU_CYCLE_1)
	s_and_b32 s2, s2, s3
	s_delay_alu instid0(VALU_DEP_2) | instid1(SALU_CYCLE_1)
	s_and_b32 s2, s2, s4
	s_delay_alu instid0(SALU_CYCLE_1)
	s_and_saveexec_b32 s3, s2
	s_cbranch_execz .LBB103_6
; %bb.1:
	v_cmp_gt_i32_e32 vcc_lo, s16, v0
	s_and_b32 exec_lo, exec_lo, vcc_lo
	s_cbranch_execz .LBB103_6
; %bb.2:
	s_clause 0x4
	s_load_b256 s[36:43], s[0:1], 0x3c
	s_load_b256 s[4:11], s[0:1], 0x60
	;; [unrolled: 1-line block ×3, first 2 shown]
	s_load_b32 s13, s[0:1], 0x5c
	s_load_b64 s[2:3], s[0:1], 0x0
	s_waitcnt lgkmcnt(0)
	v_mul_hi_u32 v2, s36, v1
	v_mul_hi_u32 v5, s39, v3
	;; [unrolled: 1-line block ×3, first 2 shown]
	v_mul_lo_u32 v9, v4, s10
	v_mul_lo_u32 v10, v3, s9
	;; [unrolled: 1-line block ×3, first 2 shown]
	v_mov_b32_e32 v6, 0
	v_mul_lo_u32 v13, v3, s5
	v_add_nc_u32_e32 v2, v1, v2
	v_add_nc_u32_e32 v5, v3, v5
	s_delay_alu instid0(VALU_DEP_4)
	v_dual_mov_b32 v8, v6 :: v_dual_add_nc_u32 v7, v4, v7
	s_clause 0x1
	s_load_b32 s5, s[0:1], 0x38
	s_load_b64 s[0:1], s[0:1], 0x10
	v_lshrrev_b32_e32 v2, s37, v2
	v_lshrrev_b32_e32 v15, s40, v5
	;; [unrolled: 1-line block ×3, first 2 shown]
	v_add3_u32 v5, v10, v11, v9
	v_mul_lo_u32 v12, v4, s6
	v_mul_lo_u32 v14, v1, s4
	;; [unrolled: 1-line block ×5, first 2 shown]
	s_load_b32 s4, s[34:35], 0x0
	v_lshlrev_b64 v[5:6], 1, v[5:6]
	s_cmp_lg_u64 s[2:3], 0
	v_mul_lo_u32 v2, s7, v0
	v_add3_u32 v7, v13, v14, v12
	v_sub_nc_u32_e32 v1, v1, v9
	v_sub_nc_u32_e32 v3, v3, v10
	;; [unrolled: 1-line block ×3, first 2 shown]
	v_add_co_u32 v9, vcc_lo, s2, v5
	v_add_co_ci_u32_e32 v5, vcc_lo, s3, v6, vcc_lo
	v_lshlrev_b64 v[7:8], 2, v[7:8]
	s_delay_alu instid0(VALU_DEP_4)
	v_mul_lo_u32 v10, v4, s26
	v_mul_lo_u32 v3, v3, s25
	;; [unrolled: 1-line block ×3, first 2 shown]
	s_cselect_b32 vcc_lo, -1, 0
	s_mov_b32 s3, 0
	v_cndmask_b32_e32 v5, 0, v5, vcc_lo
	v_cndmask_b32_e32 v4, 0, v9, vcc_lo
	s_waitcnt lgkmcnt(0)
	v_add_co_u32 v6, vcc_lo, s0, v7
	v_add_co_ci_u32_e32 v7, vcc_lo, s1, v8, vcc_lo
	s_delay_alu instid0(VALU_DEP_3)
	v_cmp_ne_u64_e32 vcc_lo, 0, v[4:5]
	v_add3_u32 v8, v3, v10, v1
	s_mul_i32 s2, s4, s12
	s_sub_i32 s5, 0, s5
	s_mul_i32 s4, s2, s7
	s_branch .LBB103_4
.LBB103_3:                              ;   in Loop: Header=BB103_4 Depth=1
	s_or_b32 exec_lo, exec_lo, s1
	v_mul_hi_u32 v1, s22, v0
	v_add_nc_u32_e32 v2, s4, v2
	s_delay_alu instid0(VALU_DEP_2) | instskip(NEXT) | instid1(VALU_DEP_1)
	v_add_nc_u32_e32 v1, v0, v1
	v_lshrrev_b32_e32 v1, s23, v1
	s_delay_alu instid0(VALU_DEP_1) | instskip(NEXT) | instid1(VALU_DEP_1)
	v_mad_u64_u32 v[9:10], null, s5, v1, v[0:1]
	v_mul_lo_u32 v1, v9, s11
	s_delay_alu instid0(VALU_DEP_1) | instskip(NEXT) | instid1(VALU_DEP_1)
	v_add_co_u32 v9, s0, v1, v8
	v_add_co_ci_u32_e64 v10, null, 0, 0, s0
	v_ashrrev_i32_e32 v1, 31, v0
	s_delay_alu instid0(VALU_DEP_2) | instskip(NEXT) | instid1(VALU_DEP_1)
	v_lshlrev_b64 v[9:10], 2, v[9:10]
	v_add_co_u32 v11, s0, s28, v9
	s_delay_alu instid0(VALU_DEP_1) | instskip(SKIP_1) | instid1(VALU_DEP_1)
	v_add_co_ci_u32_e64 v12, s0, s29, v10, s0
	v_add_co_u32 v9, s0, s30, v9
	v_add_co_ci_u32_e64 v10, s0, s31, v10, s0
	global_load_b32 v11, v[11:12], off
	global_load_b32 v12, v[9:10], off
	v_lshlrev_b64 v[9:10], 2, v[0:1]
	v_add_nc_u32_e32 v0, s2, v0
	s_delay_alu instid0(VALU_DEP_2) | instskip(NEXT) | instid1(VALU_DEP_1)
	v_add_co_u32 v9, s1, v6, v9
	v_add_co_ci_u32_e64 v10, s1, v7, v10, s1
	s_waitcnt vmcnt(1)
	v_mul_f32_e32 v1, v3, v11
	v_cmp_le_i32_e64 s0, s16, v0
	s_waitcnt vmcnt(0)
	s_delay_alu instid0(VALU_DEP_2) | instskip(NEXT) | instid1(VALU_DEP_2)
	v_mul_f32_e32 v1, v1, v12
	s_or_b32 s3, s0, s3
	global_store_b32 v[9:10], v1, off
	s_and_not1_b32 exec_lo, exec_lo, s3
	s_cbranch_execz .LBB103_6
.LBB103_4:                              ; =>This Inner Loop Header: Depth=1
	v_mov_b32_e32 v3, 0
	s_and_saveexec_b32 s1, vcc_lo
	s_cbranch_execz .LBB103_3
; %bb.5:                                ;   in Loop: Header=BB103_4 Depth=1
	v_ashrrev_i32_e32 v3, 31, v2
	s_delay_alu instid0(VALU_DEP_1) | instskip(NEXT) | instid1(VALU_DEP_1)
	v_lshlrev_b64 v[9:10], 1, v[2:3]
	v_add_co_u32 v9, s0, v4, v9
	s_delay_alu instid0(VALU_DEP_1)
	v_add_co_ci_u32_e64 v10, s0, v5, v10, s0
	global_load_u16 v1, v[9:10], off
	s_waitcnt vmcnt(0)
	v_cvt_f32_f16_e32 v3, v1
	s_branch .LBB103_3
.LBB103_6:
	s_nop 0
	s_sendmsg sendmsg(MSG_DEALLOC_VGPRS)
	s_endpgm
	.section	.rodata,"a",@progbits
	.p2align	6, 0x0
	.amdhsa_kernel _ZL11k_bin_bcastIXadL_ZL6op_mulffEE6__halfffJPKfS2_EEvPKT0_PKT1_PT2_iii15HIP_vector_typeIjLj3EESC_SC_SC_SC_iiiiiiiiiiiDpT3_
		.amdhsa_group_segment_fixed_size 0
		.amdhsa_private_segment_fixed_size 0
		.amdhsa_kernarg_size 416
		.amdhsa_user_sgpr_count 13
		.amdhsa_user_sgpr_dispatch_ptr 0
		.amdhsa_user_sgpr_queue_ptr 0
		.amdhsa_user_sgpr_kernarg_segment_ptr 1
		.amdhsa_user_sgpr_dispatch_id 0
		.amdhsa_user_sgpr_private_segment_size 0
		.amdhsa_wavefront_size32 1
		.amdhsa_uses_dynamic_stack 0
		.amdhsa_enable_private_segment 0
		.amdhsa_system_sgpr_workgroup_id_x 1
		.amdhsa_system_sgpr_workgroup_id_y 1
		.amdhsa_system_sgpr_workgroup_id_z 1
		.amdhsa_system_sgpr_workgroup_info 0
		.amdhsa_system_vgpr_workitem_id 2
		.amdhsa_next_free_vgpr 17
		.amdhsa_next_free_sgpr 44
		.amdhsa_reserve_vcc 1
		.amdhsa_float_round_mode_32 0
		.amdhsa_float_round_mode_16_64 0
		.amdhsa_float_denorm_mode_32 3
		.amdhsa_float_denorm_mode_16_64 3
		.amdhsa_dx10_clamp 1
		.amdhsa_ieee_mode 1
		.amdhsa_fp16_overflow 0
		.amdhsa_workgroup_processor_mode 1
		.amdhsa_memory_ordered 1
		.amdhsa_forward_progress 0
		.amdhsa_shared_vgpr_count 0
		.amdhsa_exception_fp_ieee_invalid_op 0
		.amdhsa_exception_fp_denorm_src 0
		.amdhsa_exception_fp_ieee_div_zero 0
		.amdhsa_exception_fp_ieee_overflow 0
		.amdhsa_exception_fp_ieee_underflow 0
		.amdhsa_exception_fp_ieee_inexact 0
		.amdhsa_exception_int_div_zero 0
	.end_amdhsa_kernel
	.section	.text._ZL11k_bin_bcastIXadL_ZL6op_mulffEE6__halfffJPKfS2_EEvPKT0_PKT1_PT2_iii15HIP_vector_typeIjLj3EESC_SC_SC_SC_iiiiiiiiiiiDpT3_,"axG",@progbits,_ZL11k_bin_bcastIXadL_ZL6op_mulffEE6__halfffJPKfS2_EEvPKT0_PKT1_PT2_iii15HIP_vector_typeIjLj3EESC_SC_SC_SC_iiiiiiiiiiiDpT3_,comdat
.Lfunc_end103:
	.size	_ZL11k_bin_bcastIXadL_ZL6op_mulffEE6__halfffJPKfS2_EEvPKT0_PKT1_PT2_iii15HIP_vector_typeIjLj3EESC_SC_SC_SC_iiiiiiiiiiiDpT3_, .Lfunc_end103-_ZL11k_bin_bcastIXadL_ZL6op_mulffEE6__halfffJPKfS2_EEvPKT0_PKT1_PT2_iii15HIP_vector_typeIjLj3EESC_SC_SC_SC_iiiiiiiiiiiDpT3_
                                        ; -- End function
	.section	.AMDGPU.csdata,"",@progbits
; Kernel info:
; codeLenInByte = 884
; NumSgprs: 46
; NumVgprs: 17
; ScratchSize: 0
; MemoryBound: 0
; FloatMode: 240
; IeeeMode: 1
; LDSByteSize: 0 bytes/workgroup (compile time only)
; SGPRBlocks: 5
; VGPRBlocks: 2
; NumSGPRsForWavesPerEU: 46
; NumVGPRsForWavesPerEU: 17
; Occupancy: 16
; WaveLimiterHint : 1
; COMPUTE_PGM_RSRC2:SCRATCH_EN: 0
; COMPUTE_PGM_RSRC2:USER_SGPR: 13
; COMPUTE_PGM_RSRC2:TRAP_HANDLER: 0
; COMPUTE_PGM_RSRC2:TGID_X_EN: 1
; COMPUTE_PGM_RSRC2:TGID_Y_EN: 1
; COMPUTE_PGM_RSRC2:TGID_Z_EN: 1
; COMPUTE_PGM_RSRC2:TIDIG_COMP_CNT: 2
	.section	.text._ZL19k_bin_bcast_unravelIXadL_ZL6op_mulffEEfffJPKfS1_S1_EEvPKT0_PKT1_PT2_15HIP_vector_typeIjLj3EESB_SB_jSB_SB_SB_SB_SB_SB_iiiiiiiiiiiDpT3_,"axG",@progbits,_ZL19k_bin_bcast_unravelIXadL_ZL6op_mulffEEfffJPKfS1_S1_EEvPKT0_PKT1_PT2_15HIP_vector_typeIjLj3EESB_SB_jSB_SB_SB_SB_SB_SB_iiiiiiiiiiiDpT3_,comdat
	.globl	_ZL19k_bin_bcast_unravelIXadL_ZL6op_mulffEEfffJPKfS1_S1_EEvPKT0_PKT1_PT2_15HIP_vector_typeIjLj3EESB_SB_jSB_SB_SB_SB_SB_SB_iiiiiiiiiiiDpT3_ ; -- Begin function _ZL19k_bin_bcast_unravelIXadL_ZL6op_mulffEEfffJPKfS1_S1_EEvPKT0_PKT1_PT2_15HIP_vector_typeIjLj3EESB_SB_jSB_SB_SB_SB_SB_SB_iiiiiiiiiiiDpT3_
	.p2align	8
	.type	_ZL19k_bin_bcast_unravelIXadL_ZL6op_mulffEEfffJPKfS1_S1_EEvPKT0_PKT1_PT2_15HIP_vector_typeIjLj3EESB_SB_jSB_SB_SB_SB_SB_SB_iiiiiiiiiiiDpT3_,@function
_ZL19k_bin_bcast_unravelIXadL_ZL6op_mulffEEfffJPKfS1_S1_EEvPKT0_PKT1_PT2_15HIP_vector_typeIjLj3EESB_SB_jSB_SB_SB_SB_SB_SB_iiiiiiiiiiiDpT3_: ; @_ZL19k_bin_bcast_unravelIXadL_ZL6op_mulffEEfffJPKfS1_S1_EEvPKT0_PKT1_PT2_15HIP_vector_typeIjLj3EESB_SB_jSB_SB_SB_SB_SB_SB_iiiiiiiiiiiDpT3_
; %bb.0:
	s_clause 0x1
	s_load_b32 s2, s[0:1], 0xdc
	s_load_b256 s[4:11], s[0:1], 0x38
	s_waitcnt lgkmcnt(0)
	s_and_b32 s2, s2, 0xffff
	s_delay_alu instid0(SALU_CYCLE_1) | instskip(SKIP_3) | instid1(VALU_DEP_1)
	v_mad_u64_u32 v[2:3], null, s15, s2, v[0:1]
	s_clause 0x1
	s_load_b128 s[12:15], s[0:1], 0x18
	s_load_b32 s2, s[0:1], 0x2c
	v_mul_hi_u32 v0, v2, s6
	s_delay_alu instid0(VALU_DEP_1) | instskip(NEXT) | instid1(VALU_DEP_1)
	v_add_nc_u32_e32 v0, v2, v0
	v_lshrrev_b32_e32 v1, s7, v0
	s_delay_alu instid0(VALU_DEP_1) | instskip(NEXT) | instid1(VALU_DEP_1)
	v_mul_lo_u32 v0, v1, s8
	v_sub_nc_u32_e32 v0, v2, v0
	s_delay_alu instid0(VALU_DEP_1) | instskip(NEXT) | instid1(VALU_DEP_1)
	v_mul_hi_u32 v2, v0, s9
	v_add_nc_u32_e32 v2, v0, v2
	s_delay_alu instid0(VALU_DEP_1) | instskip(NEXT) | instid1(VALU_DEP_1)
	v_lshrrev_b32_e32 v2, s10, v2
	v_mul_lo_u32 v3, v2, s11
	v_cmp_gt_u32_e64 s3, s4, v2
	v_cmp_gt_u32_e64 s4, s5, v1
	s_delay_alu instid0(VALU_DEP_3) | instskip(SKIP_1) | instid1(VALU_DEP_1)
	v_sub_nc_u32_e32 v0, v0, v3
	s_waitcnt lgkmcnt(0)
	v_mul_hi_u32 v3, v0, s12
	s_delay_alu instid0(VALU_DEP_1) | instskip(NEXT) | instid1(VALU_DEP_1)
	v_add_nc_u32_e32 v3, v0, v3
	v_lshrrev_b32_e32 v3, s13, v3
	s_delay_alu instid0(VALU_DEP_1) | instskip(SKIP_1) | instid1(VALU_DEP_2)
	v_mul_lo_u32 v4, v3, s14
	v_cmp_gt_u32_e64 s2, s2, v3
	v_sub_nc_u32_e32 v0, v0, v4
	s_delay_alu instid0(VALU_DEP_1) | instskip(NEXT) | instid1(VALU_DEP_3)
	v_cmp_gt_u32_e32 vcc_lo, s14, v0
	s_and_b32 s2, vcc_lo, s2
	s_delay_alu instid0(SALU_CYCLE_1) | instskip(NEXT) | instid1(SALU_CYCLE_1)
	s_and_b32 s2, s2, s3
	s_and_b32 s2, s4, s2
	s_delay_alu instid0(SALU_CYCLE_1)
	s_and_saveexec_b32 s3, s2
	s_cbranch_execz .LBB104_5
; %bb.1:
	s_clause 0x4
	s_load_b64 s[2:3], s[0:1], 0x0
	s_load_b128 s[20:23], s[0:1], 0xa8
	s_load_b256 s[4:11], s[0:1], 0x88
	s_load_b128 s[24:27], s[0:1], 0x78
	s_load_b256 s[12:19], s[0:1], 0x58
	s_waitcnt lgkmcnt(0)
	s_cmp_eq_u64 s[2:3], 0
	s_cbranch_scc1 .LBB104_3
; %bb.2:
	v_mul_lo_u32 v4, v1, s10
	v_mul_lo_u32 v6, v2, s9
	;; [unrolled: 1-line block ×3, first 2 shown]
	v_mov_b32_e32 v5, 0
	s_delay_alu instid0(VALU_DEP_2) | instskip(NEXT) | instid1(VALU_DEP_1)
	v_add3_u32 v4, v6, v4, v7
	v_lshlrev_b64 v[6:7], 2, v[4:5]
	v_mul_lo_u32 v4, v0, s7
	s_delay_alu instid0(VALU_DEP_2) | instskip(NEXT) | instid1(VALU_DEP_3)
	v_add_co_u32 v6, vcc_lo, s2, v6
	v_add_co_ci_u32_e32 v7, vcc_lo, s3, v7, vcc_lo
	s_delay_alu instid0(VALU_DEP_3) | instskip(NEXT) | instid1(VALU_DEP_1)
	v_lshlrev_b64 v[4:5], 2, v[4:5]
	v_add_co_u32 v4, vcc_lo, v6, v4
	s_delay_alu instid0(VALU_DEP_2)
	v_add_co_ci_u32_e32 v5, vcc_lo, v7, v5, vcc_lo
	global_load_b32 v4, v[4:5], off
	s_branch .LBB104_4
.LBB104_3:
	v_mov_b32_e32 v4, 0
.LBB104_4:
	v_mul_hi_u32 v5, s25, v1
	v_mul_hi_u32 v6, s18, v2
	;; [unrolled: 1-line block ×4, first 2 shown]
	s_load_b64 s[2:3], s[0:1], 0xc8
	s_delay_alu instid0(VALU_DEP_4) | instskip(NEXT) | instid1(VALU_DEP_4)
	v_add_nc_u32_e32 v5, v1, v5
	v_add_nc_u32_e32 v6, v2, v6
	s_delay_alu instid0(VALU_DEP_4) | instskip(NEXT) | instid1(VALU_DEP_4)
	v_add_nc_u32_e32 v7, v3, v7
	v_add_nc_u32_e32 v8, v0, v8
	s_delay_alu instid0(VALU_DEP_4) | instskip(NEXT) | instid1(VALU_DEP_4)
	v_lshrrev_b32_e32 v5, s26, v5
	v_lshrrev_b32_e32 v6, s19, v6
	s_delay_alu instid0(VALU_DEP_4) | instskip(NEXT) | instid1(VALU_DEP_4)
	v_lshrrev_b32_e32 v7, s16, v7
	v_lshrrev_b32_e32 v8, s13, v8
	s_delay_alu instid0(VALU_DEP_4) | instskip(NEXT) | instid1(VALU_DEP_4)
	v_mul_lo_u32 v5, v5, s27
	v_mul_lo_u32 v6, v6, s24
	s_delay_alu instid0(VALU_DEP_4) | instskip(NEXT) | instid1(VALU_DEP_4)
	v_mul_lo_u32 v7, v7, s17
	v_mul_lo_u32 v8, v8, s14
	s_delay_alu instid0(VALU_DEP_4) | instskip(NEXT) | instid1(VALU_DEP_4)
	v_sub_nc_u32_e32 v5, v1, v5
	v_sub_nc_u32_e32 v6, v2, v6
	s_delay_alu instid0(VALU_DEP_4) | instskip(NEXT) | instid1(VALU_DEP_4)
	v_sub_nc_u32_e32 v7, v3, v7
	v_sub_nc_u32_e32 v8, v0, v8
	v_mul_lo_u32 v1, v1, s6
	v_mul_lo_u32 v5, v5, s22
	;; [unrolled: 1-line block ×5, first 2 shown]
	s_clause 0x1
	s_load_b128 s[8:11], s[0:1], 0xb8
	s_load_b64 s[0:1], s[0:1], 0x10
	v_mul_lo_u32 v2, v2, s5
	s_delay_alu instid0(VALU_DEP_3) | instskip(NEXT) | instid1(VALU_DEP_3)
	v_add3_u32 v5, v6, v5, v7
	v_ashrrev_i32_e32 v6, 31, v8
	s_delay_alu instid0(VALU_DEP_2) | instskip(SKIP_1) | instid1(VALU_DEP_2)
	v_ashrrev_i32_e32 v7, 31, v5
	v_add_co_u32 v5, vcc_lo, v8, v5
	v_add_co_ci_u32_e32 v6, vcc_lo, v6, v7, vcc_lo
	s_delay_alu instid0(VALU_DEP_1) | instskip(SKIP_1) | instid1(VALU_DEP_1)
	v_lshlrev_b64 v[5:6], 2, v[5:6]
	s_waitcnt lgkmcnt(0)
	v_add_co_u32 v7, vcc_lo, s8, v5
	s_delay_alu instid0(VALU_DEP_2)
	v_add_co_ci_u32_e32 v8, vcc_lo, s9, v6, vcc_lo
	v_add_co_u32 v9, vcc_lo, s10, v5
	v_add_co_ci_u32_e32 v10, vcc_lo, s11, v6, vcc_lo
	global_load_b32 v7, v[7:8], off
	v_add_co_u32 v5, vcc_lo, s2, v5
	v_add_co_ci_u32_e32 v6, vcc_lo, s3, v6, vcc_lo
	global_load_b32 v8, v[9:10], off
	global_load_b32 v5, v[5:6], off
	v_mul_lo_u32 v6, v3, s4
	v_mov_b32_e32 v3, 0
	s_delay_alu instid0(VALU_DEP_2) | instskip(NEXT) | instid1(VALU_DEP_2)
	v_add3_u32 v2, v2, v1, v6
	v_mov_b32_e32 v1, v3
	s_delay_alu instid0(VALU_DEP_2) | instskip(NEXT) | instid1(VALU_DEP_2)
	v_lshlrev_b64 v[2:3], 2, v[2:3]
	v_lshlrev_b64 v[0:1], 2, v[0:1]
	s_delay_alu instid0(VALU_DEP_2) | instskip(NEXT) | instid1(VALU_DEP_3)
	v_add_co_u32 v2, vcc_lo, s0, v2
	v_add_co_ci_u32_e32 v3, vcc_lo, s1, v3, vcc_lo
	s_delay_alu instid0(VALU_DEP_2) | instskip(NEXT) | instid1(VALU_DEP_2)
	v_add_co_u32 v0, vcc_lo, v2, v0
	v_add_co_ci_u32_e32 v1, vcc_lo, v3, v1, vcc_lo
	s_waitcnt vmcnt(2)
	v_mul_f32_e32 v4, v4, v7
	s_waitcnt vmcnt(1)
	s_delay_alu instid0(VALU_DEP_1) | instskip(SKIP_1) | instid1(VALU_DEP_1)
	v_mul_f32_e32 v4, v4, v8
	s_waitcnt vmcnt(0)
	v_mul_f32_e32 v4, v4, v5
	global_store_b32 v[0:1], v4, off
.LBB104_5:
	s_nop 0
	s_sendmsg sendmsg(MSG_DEALLOC_VGPRS)
	s_endpgm
	.section	.rodata,"a",@progbits
	.p2align	6, 0x0
	.amdhsa_kernel _ZL19k_bin_bcast_unravelIXadL_ZL6op_mulffEEfffJPKfS1_S1_EEvPKT0_PKT1_PT2_15HIP_vector_typeIjLj3EESB_SB_jSB_SB_SB_SB_SB_SB_iiiiiiiiiiiDpT3_
		.amdhsa_group_segment_fixed_size 0
		.amdhsa_private_segment_fixed_size 0
		.amdhsa_kernarg_size 464
		.amdhsa_user_sgpr_count 15
		.amdhsa_user_sgpr_dispatch_ptr 0
		.amdhsa_user_sgpr_queue_ptr 0
		.amdhsa_user_sgpr_kernarg_segment_ptr 1
		.amdhsa_user_sgpr_dispatch_id 0
		.amdhsa_user_sgpr_private_segment_size 0
		.amdhsa_wavefront_size32 1
		.amdhsa_uses_dynamic_stack 0
		.amdhsa_enable_private_segment 0
		.amdhsa_system_sgpr_workgroup_id_x 1
		.amdhsa_system_sgpr_workgroup_id_y 0
		.amdhsa_system_sgpr_workgroup_id_z 0
		.amdhsa_system_sgpr_workgroup_info 0
		.amdhsa_system_vgpr_workitem_id 0
		.amdhsa_next_free_vgpr 11
		.amdhsa_next_free_sgpr 28
		.amdhsa_reserve_vcc 1
		.amdhsa_float_round_mode_32 0
		.amdhsa_float_round_mode_16_64 0
		.amdhsa_float_denorm_mode_32 3
		.amdhsa_float_denorm_mode_16_64 3
		.amdhsa_dx10_clamp 1
		.amdhsa_ieee_mode 1
		.amdhsa_fp16_overflow 0
		.amdhsa_workgroup_processor_mode 1
		.amdhsa_memory_ordered 1
		.amdhsa_forward_progress 0
		.amdhsa_shared_vgpr_count 0
		.amdhsa_exception_fp_ieee_invalid_op 0
		.amdhsa_exception_fp_denorm_src 0
		.amdhsa_exception_fp_ieee_div_zero 0
		.amdhsa_exception_fp_ieee_overflow 0
		.amdhsa_exception_fp_ieee_underflow 0
		.amdhsa_exception_fp_ieee_inexact 0
		.amdhsa_exception_int_div_zero 0
	.end_amdhsa_kernel
	.section	.text._ZL19k_bin_bcast_unravelIXadL_ZL6op_mulffEEfffJPKfS1_S1_EEvPKT0_PKT1_PT2_15HIP_vector_typeIjLj3EESB_SB_jSB_SB_SB_SB_SB_SB_iiiiiiiiiiiDpT3_,"axG",@progbits,_ZL19k_bin_bcast_unravelIXadL_ZL6op_mulffEEfffJPKfS1_S1_EEvPKT0_PKT1_PT2_15HIP_vector_typeIjLj3EESB_SB_jSB_SB_SB_SB_SB_SB_iiiiiiiiiiiDpT3_,comdat
.Lfunc_end104:
	.size	_ZL19k_bin_bcast_unravelIXadL_ZL6op_mulffEEfffJPKfS1_S1_EEvPKT0_PKT1_PT2_15HIP_vector_typeIjLj3EESB_SB_jSB_SB_SB_SB_SB_SB_iiiiiiiiiiiDpT3_, .Lfunc_end104-_ZL19k_bin_bcast_unravelIXadL_ZL6op_mulffEEfffJPKfS1_S1_EEvPKT0_PKT1_PT2_15HIP_vector_typeIjLj3EESB_SB_jSB_SB_SB_SB_SB_SB_iiiiiiiiiiiDpT3_
                                        ; -- End function
	.section	.AMDGPU.csdata,"",@progbits
; Kernel info:
; codeLenInByte = 876
; NumSgprs: 30
; NumVgprs: 11
; ScratchSize: 0
; MemoryBound: 0
; FloatMode: 240
; IeeeMode: 1
; LDSByteSize: 0 bytes/workgroup (compile time only)
; SGPRBlocks: 3
; VGPRBlocks: 1
; NumSGPRsForWavesPerEU: 30
; NumVGPRsForWavesPerEU: 11
; Occupancy: 16
; WaveLimiterHint : 1
; COMPUTE_PGM_RSRC2:SCRATCH_EN: 0
; COMPUTE_PGM_RSRC2:USER_SGPR: 15
; COMPUTE_PGM_RSRC2:TRAP_HANDLER: 0
; COMPUTE_PGM_RSRC2:TGID_X_EN: 1
; COMPUTE_PGM_RSRC2:TGID_Y_EN: 0
; COMPUTE_PGM_RSRC2:TGID_Z_EN: 0
; COMPUTE_PGM_RSRC2:TIDIG_COMP_CNT: 0
	.section	.text._ZL11k_bin_bcastIXadL_ZL6op_mulffEEfffJPKfS1_S1_EEvPKT0_PKT1_PT2_iii15HIP_vector_typeIjLj3EESB_SB_SB_SB_iiiiiiiiiiiDpT3_,"axG",@progbits,_ZL11k_bin_bcastIXadL_ZL6op_mulffEEfffJPKfS1_S1_EEvPKT0_PKT1_PT2_iii15HIP_vector_typeIjLj3EESB_SB_SB_SB_iiiiiiiiiiiDpT3_,comdat
	.globl	_ZL11k_bin_bcastIXadL_ZL6op_mulffEEfffJPKfS1_S1_EEvPKT0_PKT1_PT2_iii15HIP_vector_typeIjLj3EESB_SB_SB_SB_iiiiiiiiiiiDpT3_ ; -- Begin function _ZL11k_bin_bcastIXadL_ZL6op_mulffEEfffJPKfS1_S1_EEvPKT0_PKT1_PT2_iii15HIP_vector_typeIjLj3EESB_SB_SB_SB_iiiiiiiiiiiDpT3_
	.p2align	8
	.type	_ZL11k_bin_bcastIXadL_ZL6op_mulffEEfffJPKfS1_S1_EEvPKT0_PKT1_PT2_iii15HIP_vector_typeIjLj3EESB_SB_SB_SB_iiiiiiiiiiiDpT3_,@function
_ZL11k_bin_bcastIXadL_ZL6op_mulffEEfffJPKfS1_S1_EEvPKT0_PKT1_PT2_iii15HIP_vector_typeIjLj3EESB_SB_SB_SB_iiiiiiiiiiiDpT3_: ; @_ZL11k_bin_bcastIXadL_ZL6op_mulffEEfffJPKfS1_S1_EEvPKT0_PKT1_PT2_iii15HIP_vector_typeIjLj3EESB_SB_SB_SB_iiiiiiiiiiiDpT3_
; %bb.0:
	s_clause 0x1
	s_load_b64 s[2:3], s[0:1], 0xb4
	s_load_b256 s[16:23], s[0:1], 0x18
	v_bfe_u32 v1, v0, 20, 10
	s_add_u32 s34, s0, 0xa8
	s_addc_u32 s35, s1, 0
	s_waitcnt lgkmcnt(0)
	s_and_b32 s3, s3, 0xffff
	s_and_b32 s12, s2, 0xffff
	v_mad_u64_u32 v[4:5], null, s15, s3, v[1:2]
	v_and_b32_e32 v2, 0x3ff, v0
	v_bfe_u32 v5, v0, 10, 10
	s_lshr_b32 s3, s2, 16
	s_delay_alu instid0(VALU_DEP_3) | instskip(NEXT) | instid1(VALU_DEP_1)
	v_mul_hi_u32 v1, v4, s19
	v_add_nc_u32_e32 v1, v4, v1
	s_delay_alu instid0(VALU_DEP_1) | instskip(NEXT) | instid1(VALU_DEP_1)
	v_lshrrev_b32_e32 v3, s20, v1
	v_mul_lo_u32 v6, v3, s21
	v_mad_u64_u32 v[0:1], null, s13, s12, v[2:3]
	s_delay_alu instid0(VALU_DEP_2) | instskip(SKIP_1) | instid1(VALU_DEP_3)
	v_mad_u64_u32 v[1:2], null, s14, s3, v[5:6]
	v_sub_nc_u32_e32 v4, v4, v6
	v_cmp_gt_u32_e32 vcc_lo, s16, v0
	v_cmp_gt_u32_e64 s3, s18, v3
	s_delay_alu instid0(VALU_DEP_3) | instskip(SKIP_1) | instid1(VALU_DEP_1)
	v_cmp_gt_u32_e64 s4, s21, v4
	v_cmp_gt_u32_e64 s2, s17, v1
	s_and_b32 s2, vcc_lo, s2
	s_delay_alu instid0(VALU_DEP_3) | instid1(SALU_CYCLE_1)
	s_and_b32 s2, s2, s3
	s_delay_alu instid0(VALU_DEP_2) | instid1(SALU_CYCLE_1)
	s_and_b32 s2, s2, s4
	s_delay_alu instid0(SALU_CYCLE_1)
	s_and_saveexec_b32 s3, s2
	s_cbranch_execz .LBB105_6
; %bb.1:
	v_cmp_gt_i32_e32 vcc_lo, s16, v0
	s_and_b32 exec_lo, exec_lo, vcc_lo
	s_cbranch_execz .LBB105_6
; %bb.2:
	s_clause 0x2
	s_load_b256 s[36:43], s[0:1], 0x3c
	s_load_b256 s[4:11], s[0:1], 0x60
	;; [unrolled: 1-line block ×3, first 2 shown]
	s_load_b32 s13, s[34:35], 0x0
	s_clause 0x1
	s_load_b32 s2, s[0:1], 0x5c
	s_load_b64 s[14:15], s[0:1], 0x0
	s_waitcnt lgkmcnt(0)
	v_mul_hi_u32 v2, s36, v1
	v_mul_hi_u32 v5, s39, v3
	;; [unrolled: 1-line block ×3, first 2 shown]
	v_mul_lo_u32 v9, v4, s10
	v_mul_lo_u32 v10, v3, s9
	;; [unrolled: 1-line block ×3, first 2 shown]
	v_mov_b32_e32 v6, 0
	v_mul_lo_u32 v13, v3, s5
	v_add_nc_u32_e32 v2, v1, v2
	v_add_nc_u32_e32 v5, v3, v5
	s_delay_alu instid0(VALU_DEP_4) | instskip(SKIP_1) | instid1(VALU_DEP_4)
	v_dual_mov_b32 v8, v6 :: v_dual_add_nc_u32 v7, v4, v7
	v_mul_lo_u32 v14, v1, s4
	v_lshrrev_b32_e32 v2, s37, v2
	s_delay_alu instid0(VALU_DEP_4) | instskip(NEXT) | instid1(VALU_DEP_4)
	v_lshrrev_b32_e32 v15, s40, v5
	v_lshrrev_b32_e32 v16, s43, v7
	s_clause 0x1
	s_load_b32 s8, s[0:1], 0x38
	s_load_b64 s[4:5], s[0:1], 0x10
	v_add3_u32 v5, v10, v11, v9
	v_mul_lo_u32 v12, v4, s6
	v_mul_lo_u32 v9, v2, s38
	;; [unrolled: 1-line block ×4, first 2 shown]
	v_lshlrev_b64 v[5:6], 2, v[5:6]
	s_load_b64 s[2:3], s[0:1], 0xa0
	s_cmp_lg_u64 s[14:15], 0
	v_mul_lo_u32 v2, s7, v0
	v_add3_u32 v7, v13, v14, v12
	v_sub_nc_u32_e32 v1, v1, v9
	v_sub_nc_u32_e32 v3, v3, v10
	;; [unrolled: 1-line block ×3, first 2 shown]
	v_add_co_u32 v9, vcc_lo, s14, v5
	v_add_co_ci_u32_e32 v5, vcc_lo, s15, v6, vcc_lo
	v_lshlrev_b64 v[7:8], 2, v[7:8]
	s_delay_alu instid0(VALU_DEP_4)
	v_mul_lo_u32 v10, v4, s26
	v_mul_lo_u32 v3, v3, s25
	;; [unrolled: 1-line block ×3, first 2 shown]
	s_cselect_b32 vcc_lo, -1, 0
	v_cndmask_b32_e32 v5, 0, v5, vcc_lo
	v_cndmask_b32_e32 v4, 0, v9, vcc_lo
	s_waitcnt lgkmcnt(0)
	v_add_co_u32 v6, vcc_lo, s4, v7
	v_add_co_ci_u32_e32 v7, vcc_lo, s5, v8, vcc_lo
	s_delay_alu instid0(VALU_DEP_3)
	v_cmp_ne_u64_e32 vcc_lo, 0, v[4:5]
	v_add3_u32 v8, v3, v10, v1
	s_mul_i32 s4, s13, s12
	s_mov_b32 s5, 0
	s_mul_i32 s6, s4, s7
	s_sub_i32 s7, 0, s8
	s_branch .LBB105_4
.LBB105_3:                              ;   in Loop: Header=BB105_4 Depth=1
	s_or_b32 exec_lo, exec_lo, s1
	v_mul_hi_u32 v1, s22, v0
	v_add_nc_u32_e32 v2, s6, v2
	s_delay_alu instid0(VALU_DEP_2) | instskip(NEXT) | instid1(VALU_DEP_1)
	v_add_nc_u32_e32 v1, v0, v1
	v_lshrrev_b32_e32 v1, s23, v1
	s_delay_alu instid0(VALU_DEP_1) | instskip(NEXT) | instid1(VALU_DEP_1)
	v_mad_u64_u32 v[9:10], null, s7, v1, v[0:1]
	v_mul_lo_u32 v1, v9, s11
	s_delay_alu instid0(VALU_DEP_1) | instskip(NEXT) | instid1(VALU_DEP_1)
	v_add_co_u32 v9, s0, v1, v8
	v_add_co_ci_u32_e64 v10, null, 0, 0, s0
	v_ashrrev_i32_e32 v1, 31, v0
	s_delay_alu instid0(VALU_DEP_2) | instskip(NEXT) | instid1(VALU_DEP_1)
	v_lshlrev_b64 v[9:10], 2, v[9:10]
	v_add_co_u32 v11, s0, s28, v9
	s_delay_alu instid0(VALU_DEP_1) | instskip(SKIP_1) | instid1(VALU_DEP_1)
	v_add_co_ci_u32_e64 v12, s0, s29, v10, s0
	v_add_co_u32 v13, s0, s30, v9
	v_add_co_ci_u32_e64 v14, s0, s31, v10, s0
	global_load_b32 v11, v[11:12], off
	v_add_co_u32 v9, s0, s2, v9
	s_delay_alu instid0(VALU_DEP_1) | instskip(SKIP_4) | instid1(VALU_DEP_1)
	v_add_co_ci_u32_e64 v10, s0, s3, v10, s0
	global_load_b32 v12, v[13:14], off
	global_load_b32 v13, v[9:10], off
	v_lshlrev_b64 v[9:10], 2, v[0:1]
	v_add_nc_u32_e32 v0, s4, v0
	v_cmp_le_i32_e64 s0, s16, v0
	s_delay_alu instid0(VALU_DEP_3) | instskip(NEXT) | instid1(VALU_DEP_1)
	v_add_co_u32 v9, s1, v6, v9
	v_add_co_ci_u32_e64 v10, s1, v7, v10, s1
	s_delay_alu instid0(VALU_DEP_3) | instskip(SKIP_3) | instid1(VALU_DEP_1)
	s_or_b32 s5, s0, s5
	s_waitcnt vmcnt(2)
	v_mul_f32_e32 v3, v3, v11
	s_waitcnt vmcnt(1)
	v_mul_f32_e32 v1, v3, v12
	s_waitcnt vmcnt(0)
	s_delay_alu instid0(VALU_DEP_1)
	v_mul_f32_e32 v1, v1, v13
	global_store_b32 v[9:10], v1, off
	s_and_not1_b32 exec_lo, exec_lo, s5
	s_cbranch_execz .LBB105_6
.LBB105_4:                              ; =>This Inner Loop Header: Depth=1
	v_mov_b32_e32 v3, 0
	s_and_saveexec_b32 s1, vcc_lo
	s_cbranch_execz .LBB105_3
; %bb.5:                                ;   in Loop: Header=BB105_4 Depth=1
	v_ashrrev_i32_e32 v3, 31, v2
	s_delay_alu instid0(VALU_DEP_1) | instskip(NEXT) | instid1(VALU_DEP_1)
	v_lshlrev_b64 v[9:10], 2, v[2:3]
	v_add_co_u32 v9, s0, v4, v9
	s_delay_alu instid0(VALU_DEP_1)
	v_add_co_ci_u32_e64 v10, s0, v5, v10, s0
	global_load_b32 v3, v[9:10], off
	s_branch .LBB105_3
.LBB105_6:
	s_nop 0
	s_sendmsg sendmsg(MSG_DEALLOC_VGPRS)
	s_endpgm
	.section	.rodata,"a",@progbits
	.p2align	6, 0x0
	.amdhsa_kernel _ZL11k_bin_bcastIXadL_ZL6op_mulffEEfffJPKfS1_S1_EEvPKT0_PKT1_PT2_iii15HIP_vector_typeIjLj3EESB_SB_SB_SB_iiiiiiiiiiiDpT3_
		.amdhsa_group_segment_fixed_size 0
		.amdhsa_private_segment_fixed_size 0
		.amdhsa_kernarg_size 424
		.amdhsa_user_sgpr_count 13
		.amdhsa_user_sgpr_dispatch_ptr 0
		.amdhsa_user_sgpr_queue_ptr 0
		.amdhsa_user_sgpr_kernarg_segment_ptr 1
		.amdhsa_user_sgpr_dispatch_id 0
		.amdhsa_user_sgpr_private_segment_size 0
		.amdhsa_wavefront_size32 1
		.amdhsa_uses_dynamic_stack 0
		.amdhsa_enable_private_segment 0
		.amdhsa_system_sgpr_workgroup_id_x 1
		.amdhsa_system_sgpr_workgroup_id_y 1
		.amdhsa_system_sgpr_workgroup_id_z 1
		.amdhsa_system_sgpr_workgroup_info 0
		.amdhsa_system_vgpr_workitem_id 2
		.amdhsa_next_free_vgpr 17
		.amdhsa_next_free_sgpr 44
		.amdhsa_reserve_vcc 1
		.amdhsa_float_round_mode_32 0
		.amdhsa_float_round_mode_16_64 0
		.amdhsa_float_denorm_mode_32 3
		.amdhsa_float_denorm_mode_16_64 3
		.amdhsa_dx10_clamp 1
		.amdhsa_ieee_mode 1
		.amdhsa_fp16_overflow 0
		.amdhsa_workgroup_processor_mode 1
		.amdhsa_memory_ordered 1
		.amdhsa_forward_progress 0
		.amdhsa_shared_vgpr_count 0
		.amdhsa_exception_fp_ieee_invalid_op 0
		.amdhsa_exception_fp_denorm_src 0
		.amdhsa_exception_fp_ieee_div_zero 0
		.amdhsa_exception_fp_ieee_overflow 0
		.amdhsa_exception_fp_ieee_underflow 0
		.amdhsa_exception_fp_ieee_inexact 0
		.amdhsa_exception_int_div_zero 0
	.end_amdhsa_kernel
	.section	.text._ZL11k_bin_bcastIXadL_ZL6op_mulffEEfffJPKfS1_S1_EEvPKT0_PKT1_PT2_iii15HIP_vector_typeIjLj3EESB_SB_SB_SB_iiiiiiiiiiiDpT3_,"axG",@progbits,_ZL11k_bin_bcastIXadL_ZL6op_mulffEEfffJPKfS1_S1_EEvPKT0_PKT1_PT2_iii15HIP_vector_typeIjLj3EESB_SB_SB_SB_iiiiiiiiiiiDpT3_,comdat
.Lfunc_end105:
	.size	_ZL11k_bin_bcastIXadL_ZL6op_mulffEEfffJPKfS1_S1_EEvPKT0_PKT1_PT2_iii15HIP_vector_typeIjLj3EESB_SB_SB_SB_iiiiiiiiiiiDpT3_, .Lfunc_end105-_ZL11k_bin_bcastIXadL_ZL6op_mulffEEfffJPKfS1_S1_EEvPKT0_PKT1_PT2_iii15HIP_vector_typeIjLj3EESB_SB_SB_SB_iiiiiiiiiiiDpT3_
                                        ; -- End function
	.section	.AMDGPU.csdata,"",@progbits
; Kernel info:
; codeLenInByte = 932
; NumSgprs: 46
; NumVgprs: 17
; ScratchSize: 0
; MemoryBound: 0
; FloatMode: 240
; IeeeMode: 1
; LDSByteSize: 0 bytes/workgroup (compile time only)
; SGPRBlocks: 5
; VGPRBlocks: 2
; NumSGPRsForWavesPerEU: 46
; NumVGPRsForWavesPerEU: 17
; Occupancy: 16
; WaveLimiterHint : 1
; COMPUTE_PGM_RSRC2:SCRATCH_EN: 0
; COMPUTE_PGM_RSRC2:USER_SGPR: 13
; COMPUTE_PGM_RSRC2:TRAP_HANDLER: 0
; COMPUTE_PGM_RSRC2:TGID_X_EN: 1
; COMPUTE_PGM_RSRC2:TGID_Y_EN: 1
; COMPUTE_PGM_RSRC2:TGID_Z_EN: 1
; COMPUTE_PGM_RSRC2:TIDIG_COMP_CNT: 2
	.section	.text._ZL19k_bin_bcast_unravelIXadL_ZL6op_mulffEE6__halfS0_S0_JPKS0_S2_S2_EEvPKT0_PKT1_PT2_15HIP_vector_typeIjLj3EESC_SC_jSC_SC_SC_SC_SC_SC_iiiiiiiiiiiDpT3_,"axG",@progbits,_ZL19k_bin_bcast_unravelIXadL_ZL6op_mulffEE6__halfS0_S0_JPKS0_S2_S2_EEvPKT0_PKT1_PT2_15HIP_vector_typeIjLj3EESC_SC_jSC_SC_SC_SC_SC_SC_iiiiiiiiiiiDpT3_,comdat
	.globl	_ZL19k_bin_bcast_unravelIXadL_ZL6op_mulffEE6__halfS0_S0_JPKS0_S2_S2_EEvPKT0_PKT1_PT2_15HIP_vector_typeIjLj3EESC_SC_jSC_SC_SC_SC_SC_SC_iiiiiiiiiiiDpT3_ ; -- Begin function _ZL19k_bin_bcast_unravelIXadL_ZL6op_mulffEE6__halfS0_S0_JPKS0_S2_S2_EEvPKT0_PKT1_PT2_15HIP_vector_typeIjLj3EESC_SC_jSC_SC_SC_SC_SC_SC_iiiiiiiiiiiDpT3_
	.p2align	8
	.type	_ZL19k_bin_bcast_unravelIXadL_ZL6op_mulffEE6__halfS0_S0_JPKS0_S2_S2_EEvPKT0_PKT1_PT2_15HIP_vector_typeIjLj3EESC_SC_jSC_SC_SC_SC_SC_SC_iiiiiiiiiiiDpT3_,@function
_ZL19k_bin_bcast_unravelIXadL_ZL6op_mulffEE6__halfS0_S0_JPKS0_S2_S2_EEvPKT0_PKT1_PT2_15HIP_vector_typeIjLj3EESC_SC_jSC_SC_SC_SC_SC_SC_iiiiiiiiiiiDpT3_: ; @_ZL19k_bin_bcast_unravelIXadL_ZL6op_mulffEE6__halfS0_S0_JPKS0_S2_S2_EEvPKT0_PKT1_PT2_15HIP_vector_typeIjLj3EESC_SC_jSC_SC_SC_SC_SC_SC_iiiiiiiiiiiDpT3_
; %bb.0:
	s_clause 0x1
	s_load_b32 s2, s[0:1], 0xdc
	s_load_b256 s[4:11], s[0:1], 0x38
	s_waitcnt lgkmcnt(0)
	s_and_b32 s2, s2, 0xffff
	s_delay_alu instid0(SALU_CYCLE_1) | instskip(SKIP_3) | instid1(VALU_DEP_1)
	v_mad_u64_u32 v[2:3], null, s15, s2, v[0:1]
	s_clause 0x1
	s_load_b128 s[12:15], s[0:1], 0x18
	s_load_b32 s2, s[0:1], 0x2c
	v_mul_hi_u32 v0, v2, s6
	s_delay_alu instid0(VALU_DEP_1) | instskip(NEXT) | instid1(VALU_DEP_1)
	v_add_nc_u32_e32 v0, v2, v0
	v_lshrrev_b32_e32 v1, s7, v0
	s_delay_alu instid0(VALU_DEP_1) | instskip(NEXT) | instid1(VALU_DEP_1)
	v_mul_lo_u32 v0, v1, s8
	v_sub_nc_u32_e32 v0, v2, v0
	s_delay_alu instid0(VALU_DEP_1) | instskip(NEXT) | instid1(VALU_DEP_1)
	v_mul_hi_u32 v2, v0, s9
	v_add_nc_u32_e32 v2, v0, v2
	s_delay_alu instid0(VALU_DEP_1) | instskip(NEXT) | instid1(VALU_DEP_1)
	v_lshrrev_b32_e32 v2, s10, v2
	v_mul_lo_u32 v3, v2, s11
	v_cmp_gt_u32_e64 s3, s4, v2
	v_cmp_gt_u32_e64 s4, s5, v1
	s_delay_alu instid0(VALU_DEP_3) | instskip(SKIP_1) | instid1(VALU_DEP_1)
	v_sub_nc_u32_e32 v0, v0, v3
	s_waitcnt lgkmcnt(0)
	v_mul_hi_u32 v3, v0, s12
	s_delay_alu instid0(VALU_DEP_1) | instskip(NEXT) | instid1(VALU_DEP_1)
	v_add_nc_u32_e32 v3, v0, v3
	v_lshrrev_b32_e32 v3, s13, v3
	s_delay_alu instid0(VALU_DEP_1) | instskip(SKIP_1) | instid1(VALU_DEP_2)
	v_mul_lo_u32 v4, v3, s14
	v_cmp_gt_u32_e64 s2, s2, v3
	v_sub_nc_u32_e32 v0, v0, v4
	s_delay_alu instid0(VALU_DEP_1) | instskip(NEXT) | instid1(VALU_DEP_3)
	v_cmp_gt_u32_e32 vcc_lo, s14, v0
	s_and_b32 s2, vcc_lo, s2
	s_delay_alu instid0(SALU_CYCLE_1) | instskip(NEXT) | instid1(SALU_CYCLE_1)
	s_and_b32 s2, s2, s3
	s_and_b32 s2, s4, s2
	s_delay_alu instid0(SALU_CYCLE_1)
	s_and_saveexec_b32 s3, s2
	s_cbranch_execz .LBB106_5
; %bb.1:
	s_clause 0x4
	s_load_b64 s[2:3], s[0:1], 0x0
	s_load_b128 s[20:23], s[0:1], 0xa8
	s_load_b256 s[4:11], s[0:1], 0x88
	s_load_b128 s[24:27], s[0:1], 0x78
	s_load_b256 s[12:19], s[0:1], 0x58
	s_waitcnt lgkmcnt(0)
	s_cmp_eq_u64 s[2:3], 0
	s_cbranch_scc1 .LBB106_3
; %bb.2:
	v_mul_lo_u32 v4, v1, s10
	v_mul_lo_u32 v6, v2, s9
	;; [unrolled: 1-line block ×3, first 2 shown]
	v_mov_b32_e32 v5, 0
	s_delay_alu instid0(VALU_DEP_2) | instskip(NEXT) | instid1(VALU_DEP_1)
	v_add3_u32 v4, v6, v4, v7
	v_lshlrev_b64 v[6:7], 1, v[4:5]
	v_mul_lo_u32 v4, v0, s7
	s_delay_alu instid0(VALU_DEP_2) | instskip(NEXT) | instid1(VALU_DEP_3)
	v_add_co_u32 v6, vcc_lo, s2, v6
	v_add_co_ci_u32_e32 v7, vcc_lo, s3, v7, vcc_lo
	s_delay_alu instid0(VALU_DEP_3) | instskip(NEXT) | instid1(VALU_DEP_1)
	v_lshlrev_b64 v[4:5], 1, v[4:5]
	v_add_co_u32 v4, vcc_lo, v6, v4
	s_delay_alu instid0(VALU_DEP_2)
	v_add_co_ci_u32_e32 v5, vcc_lo, v7, v5, vcc_lo
	global_load_u16 v4, v[4:5], off
	s_waitcnt vmcnt(0)
	v_cvt_f32_f16_e32 v4, v4
	s_branch .LBB106_4
.LBB106_3:
	v_mov_b32_e32 v4, 0
.LBB106_4:
	v_mul_hi_u32 v5, s25, v1
	v_mul_hi_u32 v6, s18, v2
	v_mul_hi_u32 v7, s15, v3
	v_mul_hi_u32 v8, s12, v0
	s_load_b64 s[2:3], s[0:1], 0xc8
	s_delay_alu instid0(VALU_DEP_4) | instskip(NEXT) | instid1(VALU_DEP_4)
	v_add_nc_u32_e32 v5, v1, v5
	v_add_nc_u32_e32 v6, v2, v6
	s_delay_alu instid0(VALU_DEP_4) | instskip(NEXT) | instid1(VALU_DEP_4)
	v_add_nc_u32_e32 v7, v3, v7
	v_add_nc_u32_e32 v8, v0, v8
	s_delay_alu instid0(VALU_DEP_4) | instskip(NEXT) | instid1(VALU_DEP_4)
	v_lshrrev_b32_e32 v5, s26, v5
	v_lshrrev_b32_e32 v6, s19, v6
	s_delay_alu instid0(VALU_DEP_4) | instskip(NEXT) | instid1(VALU_DEP_4)
	v_lshrrev_b32_e32 v7, s16, v7
	v_lshrrev_b32_e32 v8, s13, v8
	s_delay_alu instid0(VALU_DEP_4) | instskip(NEXT) | instid1(VALU_DEP_4)
	v_mul_lo_u32 v5, v5, s27
	v_mul_lo_u32 v6, v6, s24
	s_delay_alu instid0(VALU_DEP_4) | instskip(NEXT) | instid1(VALU_DEP_4)
	v_mul_lo_u32 v7, v7, s17
	v_mul_lo_u32 v8, v8, s14
	s_delay_alu instid0(VALU_DEP_4) | instskip(NEXT) | instid1(VALU_DEP_4)
	v_sub_nc_u32_e32 v5, v1, v5
	v_sub_nc_u32_e32 v6, v2, v6
	s_delay_alu instid0(VALU_DEP_4) | instskip(NEXT) | instid1(VALU_DEP_4)
	v_sub_nc_u32_e32 v7, v3, v7
	v_sub_nc_u32_e32 v8, v0, v8
	v_mul_lo_u32 v1, v1, s6
	v_mul_lo_u32 v5, v5, s22
	;; [unrolled: 1-line block ×5, first 2 shown]
	s_clause 0x1
	s_load_b128 s[8:11], s[0:1], 0xb8
	s_load_b64 s[0:1], s[0:1], 0x10
	v_mul_lo_u32 v2, v2, s5
	s_delay_alu instid0(VALU_DEP_3) | instskip(NEXT) | instid1(VALU_DEP_3)
	v_add3_u32 v5, v6, v5, v7
	v_ashrrev_i32_e32 v6, 31, v8
	s_delay_alu instid0(VALU_DEP_2) | instskip(SKIP_1) | instid1(VALU_DEP_2)
	v_ashrrev_i32_e32 v7, 31, v5
	v_add_co_u32 v5, vcc_lo, v8, v5
	v_add_co_ci_u32_e32 v6, vcc_lo, v6, v7, vcc_lo
	s_delay_alu instid0(VALU_DEP_1) | instskip(SKIP_1) | instid1(VALU_DEP_1)
	v_lshlrev_b64 v[5:6], 1, v[5:6]
	s_waitcnt lgkmcnt(0)
	v_add_co_u32 v7, vcc_lo, s8, v5
	s_delay_alu instid0(VALU_DEP_2)
	v_add_co_ci_u32_e32 v8, vcc_lo, s9, v6, vcc_lo
	v_add_co_u32 v9, vcc_lo, s10, v5
	v_add_co_ci_u32_e32 v10, vcc_lo, s11, v6, vcc_lo
	global_load_u16 v7, v[7:8], off
	global_load_u16 v8, v[9:10], off
	v_add_co_u32 v5, vcc_lo, s2, v5
	v_add_co_ci_u32_e32 v6, vcc_lo, s3, v6, vcc_lo
	global_load_u16 v5, v[5:6], off
	v_mul_lo_u32 v6, v3, s4
	v_mov_b32_e32 v3, 0
	s_delay_alu instid0(VALU_DEP_2) | instskip(NEXT) | instid1(VALU_DEP_2)
	v_add3_u32 v2, v2, v1, v6
	v_mov_b32_e32 v1, v3
	s_delay_alu instid0(VALU_DEP_2) | instskip(NEXT) | instid1(VALU_DEP_2)
	v_lshlrev_b64 v[2:3], 1, v[2:3]
	v_lshlrev_b64 v[0:1], 1, v[0:1]
	s_delay_alu instid0(VALU_DEP_2) | instskip(NEXT) | instid1(VALU_DEP_3)
	v_add_co_u32 v2, vcc_lo, s0, v2
	v_add_co_ci_u32_e32 v3, vcc_lo, s1, v3, vcc_lo
	s_delay_alu instid0(VALU_DEP_2) | instskip(NEXT) | instid1(VALU_DEP_2)
	v_add_co_u32 v0, vcc_lo, v2, v0
	v_add_co_ci_u32_e32 v1, vcc_lo, v3, v1, vcc_lo
	s_waitcnt vmcnt(2)
	v_cvt_f32_f16_e32 v7, v7
	s_waitcnt vmcnt(1)
	v_cvt_f32_f16_e32 v6, v8
	s_delay_alu instid0(VALU_DEP_2) | instskip(NEXT) | instid1(VALU_DEP_1)
	v_mul_f32_e32 v4, v4, v7
	v_mul_f32_e32 v4, v4, v6
	s_waitcnt vmcnt(0)
	s_delay_alu instid0(VALU_DEP_1)
	v_fma_mixlo_f16 v4, v4, v5, 0 op_sel_hi:[0,1,0]
	global_store_b16 v[0:1], v4, off
.LBB106_5:
	s_nop 0
	s_sendmsg sendmsg(MSG_DEALLOC_VGPRS)
	s_endpgm
	.section	.rodata,"a",@progbits
	.p2align	6, 0x0
	.amdhsa_kernel _ZL19k_bin_bcast_unravelIXadL_ZL6op_mulffEE6__halfS0_S0_JPKS0_S2_S2_EEvPKT0_PKT1_PT2_15HIP_vector_typeIjLj3EESC_SC_jSC_SC_SC_SC_SC_SC_iiiiiiiiiiiDpT3_
		.amdhsa_group_segment_fixed_size 0
		.amdhsa_private_segment_fixed_size 0
		.amdhsa_kernarg_size 464
		.amdhsa_user_sgpr_count 15
		.amdhsa_user_sgpr_dispatch_ptr 0
		.amdhsa_user_sgpr_queue_ptr 0
		.amdhsa_user_sgpr_kernarg_segment_ptr 1
		.amdhsa_user_sgpr_dispatch_id 0
		.amdhsa_user_sgpr_private_segment_size 0
		.amdhsa_wavefront_size32 1
		.amdhsa_uses_dynamic_stack 0
		.amdhsa_enable_private_segment 0
		.amdhsa_system_sgpr_workgroup_id_x 1
		.amdhsa_system_sgpr_workgroup_id_y 0
		.amdhsa_system_sgpr_workgroup_id_z 0
		.amdhsa_system_sgpr_workgroup_info 0
		.amdhsa_system_vgpr_workitem_id 0
		.amdhsa_next_free_vgpr 11
		.amdhsa_next_free_sgpr 28
		.amdhsa_reserve_vcc 1
		.amdhsa_float_round_mode_32 0
		.amdhsa_float_round_mode_16_64 0
		.amdhsa_float_denorm_mode_32 3
		.amdhsa_float_denorm_mode_16_64 3
		.amdhsa_dx10_clamp 1
		.amdhsa_ieee_mode 1
		.amdhsa_fp16_overflow 0
		.amdhsa_workgroup_processor_mode 1
		.amdhsa_memory_ordered 1
		.amdhsa_forward_progress 0
		.amdhsa_shared_vgpr_count 0
		.amdhsa_exception_fp_ieee_invalid_op 0
		.amdhsa_exception_fp_denorm_src 0
		.amdhsa_exception_fp_ieee_div_zero 0
		.amdhsa_exception_fp_ieee_overflow 0
		.amdhsa_exception_fp_ieee_underflow 0
		.amdhsa_exception_fp_ieee_inexact 0
		.amdhsa_exception_int_div_zero 0
	.end_amdhsa_kernel
	.section	.text._ZL19k_bin_bcast_unravelIXadL_ZL6op_mulffEE6__halfS0_S0_JPKS0_S2_S2_EEvPKT0_PKT1_PT2_15HIP_vector_typeIjLj3EESC_SC_jSC_SC_SC_SC_SC_SC_iiiiiiiiiiiDpT3_,"axG",@progbits,_ZL19k_bin_bcast_unravelIXadL_ZL6op_mulffEE6__halfS0_S0_JPKS0_S2_S2_EEvPKT0_PKT1_PT2_15HIP_vector_typeIjLj3EESC_SC_jSC_SC_SC_SC_SC_SC_iiiiiiiiiiiDpT3_,comdat
.Lfunc_end106:
	.size	_ZL19k_bin_bcast_unravelIXadL_ZL6op_mulffEE6__halfS0_S0_JPKS0_S2_S2_EEvPKT0_PKT1_PT2_15HIP_vector_typeIjLj3EESC_SC_jSC_SC_SC_SC_SC_SC_iiiiiiiiiiiDpT3_, .Lfunc_end106-_ZL19k_bin_bcast_unravelIXadL_ZL6op_mulffEE6__halfS0_S0_JPKS0_S2_S2_EEvPKT0_PKT1_PT2_15HIP_vector_typeIjLj3EESC_SC_jSC_SC_SC_SC_SC_SC_iiiiiiiiiiiDpT3_
                                        ; -- End function
	.section	.AMDGPU.csdata,"",@progbits
; Kernel info:
; codeLenInByte = 900
; NumSgprs: 30
; NumVgprs: 11
; ScratchSize: 0
; MemoryBound: 0
; FloatMode: 240
; IeeeMode: 1
; LDSByteSize: 0 bytes/workgroup (compile time only)
; SGPRBlocks: 3
; VGPRBlocks: 1
; NumSGPRsForWavesPerEU: 30
; NumVGPRsForWavesPerEU: 11
; Occupancy: 16
; WaveLimiterHint : 1
; COMPUTE_PGM_RSRC2:SCRATCH_EN: 0
; COMPUTE_PGM_RSRC2:USER_SGPR: 15
; COMPUTE_PGM_RSRC2:TRAP_HANDLER: 0
; COMPUTE_PGM_RSRC2:TGID_X_EN: 1
; COMPUTE_PGM_RSRC2:TGID_Y_EN: 0
; COMPUTE_PGM_RSRC2:TGID_Z_EN: 0
; COMPUTE_PGM_RSRC2:TIDIG_COMP_CNT: 0
	.section	.text._ZL11k_bin_bcastIXadL_ZL6op_mulffEE6__halfS0_S0_JPKS0_S2_S2_EEvPKT0_PKT1_PT2_iii15HIP_vector_typeIjLj3EESC_SC_SC_SC_iiiiiiiiiiiDpT3_,"axG",@progbits,_ZL11k_bin_bcastIXadL_ZL6op_mulffEE6__halfS0_S0_JPKS0_S2_S2_EEvPKT0_PKT1_PT2_iii15HIP_vector_typeIjLj3EESC_SC_SC_SC_iiiiiiiiiiiDpT3_,comdat
	.globl	_ZL11k_bin_bcastIXadL_ZL6op_mulffEE6__halfS0_S0_JPKS0_S2_S2_EEvPKT0_PKT1_PT2_iii15HIP_vector_typeIjLj3EESC_SC_SC_SC_iiiiiiiiiiiDpT3_ ; -- Begin function _ZL11k_bin_bcastIXadL_ZL6op_mulffEE6__halfS0_S0_JPKS0_S2_S2_EEvPKT0_PKT1_PT2_iii15HIP_vector_typeIjLj3EESC_SC_SC_SC_iiiiiiiiiiiDpT3_
	.p2align	8
	.type	_ZL11k_bin_bcastIXadL_ZL6op_mulffEE6__halfS0_S0_JPKS0_S2_S2_EEvPKT0_PKT1_PT2_iii15HIP_vector_typeIjLj3EESC_SC_SC_SC_iiiiiiiiiiiDpT3_,@function
_ZL11k_bin_bcastIXadL_ZL6op_mulffEE6__halfS0_S0_JPKS0_S2_S2_EEvPKT0_PKT1_PT2_iii15HIP_vector_typeIjLj3EESC_SC_SC_SC_iiiiiiiiiiiDpT3_: ; @_ZL11k_bin_bcastIXadL_ZL6op_mulffEE6__halfS0_S0_JPKS0_S2_S2_EEvPKT0_PKT1_PT2_iii15HIP_vector_typeIjLj3EESC_SC_SC_SC_iiiiiiiiiiiDpT3_
; %bb.0:
	s_clause 0x1
	s_load_b64 s[2:3], s[0:1], 0xb4
	s_load_b256 s[16:23], s[0:1], 0x18
	v_bfe_u32 v1, v0, 20, 10
	s_add_u32 s34, s0, 0xa8
	s_addc_u32 s35, s1, 0
	s_waitcnt lgkmcnt(0)
	s_and_b32 s3, s3, 0xffff
	s_and_b32 s12, s2, 0xffff
	v_mad_u64_u32 v[4:5], null, s15, s3, v[1:2]
	v_and_b32_e32 v2, 0x3ff, v0
	v_bfe_u32 v5, v0, 10, 10
	s_lshr_b32 s3, s2, 16
	s_delay_alu instid0(VALU_DEP_3) | instskip(NEXT) | instid1(VALU_DEP_1)
	v_mul_hi_u32 v1, v4, s19
	v_add_nc_u32_e32 v1, v4, v1
	s_delay_alu instid0(VALU_DEP_1) | instskip(NEXT) | instid1(VALU_DEP_1)
	v_lshrrev_b32_e32 v3, s20, v1
	v_mul_lo_u32 v6, v3, s21
	v_mad_u64_u32 v[0:1], null, s13, s12, v[2:3]
	s_delay_alu instid0(VALU_DEP_2) | instskip(SKIP_1) | instid1(VALU_DEP_3)
	v_mad_u64_u32 v[1:2], null, s14, s3, v[5:6]
	v_sub_nc_u32_e32 v4, v4, v6
	v_cmp_gt_u32_e32 vcc_lo, s16, v0
	v_cmp_gt_u32_e64 s3, s18, v3
	s_delay_alu instid0(VALU_DEP_3) | instskip(SKIP_1) | instid1(VALU_DEP_1)
	v_cmp_gt_u32_e64 s4, s21, v4
	v_cmp_gt_u32_e64 s2, s17, v1
	s_and_b32 s2, vcc_lo, s2
	s_delay_alu instid0(VALU_DEP_3) | instid1(SALU_CYCLE_1)
	s_and_b32 s2, s2, s3
	s_delay_alu instid0(VALU_DEP_2) | instid1(SALU_CYCLE_1)
	s_and_b32 s2, s2, s4
	s_delay_alu instid0(SALU_CYCLE_1)
	s_and_saveexec_b32 s3, s2
	s_cbranch_execz .LBB107_6
; %bb.1:
	v_cmp_gt_i32_e32 vcc_lo, s16, v0
	s_and_b32 exec_lo, exec_lo, vcc_lo
	s_cbranch_execz .LBB107_6
; %bb.2:
	s_clause 0x2
	s_load_b256 s[36:43], s[0:1], 0x3c
	s_load_b256 s[4:11], s[0:1], 0x60
	;; [unrolled: 1-line block ×3, first 2 shown]
	s_load_b32 s13, s[34:35], 0x0
	s_clause 0x1
	s_load_b32 s2, s[0:1], 0x5c
	s_load_b64 s[14:15], s[0:1], 0x0
	s_waitcnt lgkmcnt(0)
	v_mul_hi_u32 v2, s36, v1
	v_mul_hi_u32 v5, s39, v3
	;; [unrolled: 1-line block ×3, first 2 shown]
	v_mul_lo_u32 v9, v4, s10
	v_mul_lo_u32 v10, v3, s9
	;; [unrolled: 1-line block ×3, first 2 shown]
	v_mov_b32_e32 v6, 0
	v_mul_lo_u32 v13, v3, s5
	v_add_nc_u32_e32 v2, v1, v2
	v_add_nc_u32_e32 v5, v3, v5
	s_delay_alu instid0(VALU_DEP_4) | instskip(SKIP_1) | instid1(VALU_DEP_4)
	v_dual_mov_b32 v8, v6 :: v_dual_add_nc_u32 v7, v4, v7
	v_mul_lo_u32 v14, v1, s4
	v_lshrrev_b32_e32 v2, s37, v2
	s_delay_alu instid0(VALU_DEP_4) | instskip(NEXT) | instid1(VALU_DEP_4)
	v_lshrrev_b32_e32 v15, s40, v5
	v_lshrrev_b32_e32 v16, s43, v7
	s_clause 0x1
	s_load_b32 s8, s[0:1], 0x38
	s_load_b64 s[4:5], s[0:1], 0x10
	v_add3_u32 v5, v10, v11, v9
	v_mul_lo_u32 v12, v4, s6
	v_mul_lo_u32 v9, v2, s38
	;; [unrolled: 1-line block ×4, first 2 shown]
	v_lshlrev_b64 v[5:6], 1, v[5:6]
	s_load_b64 s[2:3], s[0:1], 0xa0
	s_cmp_lg_u64 s[14:15], 0
	v_mul_lo_u32 v2, s7, v0
	v_add3_u32 v7, v13, v14, v12
	v_sub_nc_u32_e32 v1, v1, v9
	v_sub_nc_u32_e32 v3, v3, v10
	;; [unrolled: 1-line block ×3, first 2 shown]
	v_add_co_u32 v9, vcc_lo, s14, v5
	v_add_co_ci_u32_e32 v5, vcc_lo, s15, v6, vcc_lo
	v_lshlrev_b64 v[7:8], 1, v[7:8]
	s_delay_alu instid0(VALU_DEP_4)
	v_mul_lo_u32 v10, v4, s26
	v_mul_lo_u32 v3, v3, s25
	;; [unrolled: 1-line block ×3, first 2 shown]
	s_cselect_b32 vcc_lo, -1, 0
	v_cndmask_b32_e32 v5, 0, v5, vcc_lo
	v_cndmask_b32_e32 v4, 0, v9, vcc_lo
	s_waitcnt lgkmcnt(0)
	v_add_co_u32 v6, vcc_lo, s4, v7
	v_add_co_ci_u32_e32 v7, vcc_lo, s5, v8, vcc_lo
	s_delay_alu instid0(VALU_DEP_3)
	v_cmp_ne_u64_e32 vcc_lo, 0, v[4:5]
	v_add3_u32 v8, v3, v10, v1
	s_mul_i32 s4, s13, s12
	s_mov_b32 s5, 0
	s_mul_i32 s6, s4, s7
	s_sub_i32 s7, 0, s8
	s_branch .LBB107_4
.LBB107_3:                              ;   in Loop: Header=BB107_4 Depth=1
	s_or_b32 exec_lo, exec_lo, s1
	v_mul_hi_u32 v1, s22, v0
	v_add_nc_u32_e32 v2, s6, v2
	s_delay_alu instid0(VALU_DEP_2) | instskip(NEXT) | instid1(VALU_DEP_1)
	v_add_nc_u32_e32 v1, v0, v1
	v_lshrrev_b32_e32 v1, s23, v1
	s_delay_alu instid0(VALU_DEP_1) | instskip(NEXT) | instid1(VALU_DEP_1)
	v_mad_u64_u32 v[9:10], null, s7, v1, v[0:1]
	v_mul_lo_u32 v1, v9, s11
	s_delay_alu instid0(VALU_DEP_1) | instskip(NEXT) | instid1(VALU_DEP_1)
	v_add_co_u32 v9, s0, v1, v8
	v_add_co_ci_u32_e64 v10, null, 0, 0, s0
	s_delay_alu instid0(VALU_DEP_1) | instskip(NEXT) | instid1(VALU_DEP_1)
	v_lshlrev_b64 v[9:10], 1, v[9:10]
	v_add_co_u32 v11, s0, s28, v9
	s_delay_alu instid0(VALU_DEP_1) | instskip(SKIP_1) | instid1(VALU_DEP_1)
	v_add_co_ci_u32_e64 v12, s0, s29, v10, s0
	v_add_co_u32 v13, s0, s30, v9
	v_add_co_ci_u32_e64 v14, s0, s31, v10, s0
	global_load_u16 v1, v[11:12], off
	global_load_u16 v11, v[13:14], off
	v_add_co_u32 v9, s0, s2, v9
	s_delay_alu instid0(VALU_DEP_1)
	v_add_co_ci_u32_e64 v10, s0, s3, v10, s0
	global_load_u16 v12, v[9:10], off
	s_waitcnt vmcnt(2)
	v_cvt_f32_f16_e32 v9, v1
	v_ashrrev_i32_e32 v1, 31, v0
	s_waitcnt vmcnt(1)
	v_cvt_f32_f16_e32 v11, v11
	s_delay_alu instid0(VALU_DEP_3) | instskip(NEXT) | instid1(VALU_DEP_3)
	v_mul_f32_e32 v3, v3, v9
	v_lshlrev_b64 v[9:10], 1, v[0:1]
	s_delay_alu instid0(VALU_DEP_2) | instskip(NEXT) | instid1(VALU_DEP_1)
	v_dual_mul_f32 v1, v3, v11 :: v_dual_add_nc_u32 v0, s4, v0
	v_cmp_le_i32_e64 s0, s16, v0
	s_delay_alu instid0(VALU_DEP_3) | instskip(SKIP_1) | instid1(VALU_DEP_3)
	v_add_co_u32 v9, s1, v6, v9
	s_waitcnt vmcnt(0)
	v_fma_mixlo_f16 v1, v1, v12, 0 op_sel_hi:[0,1,0]
	v_add_co_ci_u32_e64 v10, s1, v7, v10, s1
	s_or_b32 s5, s0, s5
	global_store_b16 v[9:10], v1, off
	s_and_not1_b32 exec_lo, exec_lo, s5
	s_cbranch_execz .LBB107_6
.LBB107_4:                              ; =>This Inner Loop Header: Depth=1
	v_mov_b32_e32 v3, 0
	s_and_saveexec_b32 s1, vcc_lo
	s_cbranch_execz .LBB107_3
; %bb.5:                                ;   in Loop: Header=BB107_4 Depth=1
	v_ashrrev_i32_e32 v3, 31, v2
	s_delay_alu instid0(VALU_DEP_1) | instskip(NEXT) | instid1(VALU_DEP_1)
	v_lshlrev_b64 v[9:10], 1, v[2:3]
	v_add_co_u32 v9, s0, v4, v9
	s_delay_alu instid0(VALU_DEP_1)
	v_add_co_ci_u32_e64 v10, s0, v5, v10, s0
	global_load_u16 v1, v[9:10], off
	s_waitcnt vmcnt(0)
	v_cvt_f32_f16_e32 v3, v1
	s_branch .LBB107_3
.LBB107_6:
	s_nop 0
	s_sendmsg sendmsg(MSG_DEALLOC_VGPRS)
	s_endpgm
	.section	.rodata,"a",@progbits
	.p2align	6, 0x0
	.amdhsa_kernel _ZL11k_bin_bcastIXadL_ZL6op_mulffEE6__halfS0_S0_JPKS0_S2_S2_EEvPKT0_PKT1_PT2_iii15HIP_vector_typeIjLj3EESC_SC_SC_SC_iiiiiiiiiiiDpT3_
		.amdhsa_group_segment_fixed_size 0
		.amdhsa_private_segment_fixed_size 0
		.amdhsa_kernarg_size 424
		.amdhsa_user_sgpr_count 13
		.amdhsa_user_sgpr_dispatch_ptr 0
		.amdhsa_user_sgpr_queue_ptr 0
		.amdhsa_user_sgpr_kernarg_segment_ptr 1
		.amdhsa_user_sgpr_dispatch_id 0
		.amdhsa_user_sgpr_private_segment_size 0
		.amdhsa_wavefront_size32 1
		.amdhsa_uses_dynamic_stack 0
		.amdhsa_enable_private_segment 0
		.amdhsa_system_sgpr_workgroup_id_x 1
		.amdhsa_system_sgpr_workgroup_id_y 1
		.amdhsa_system_sgpr_workgroup_id_z 1
		.amdhsa_system_sgpr_workgroup_info 0
		.amdhsa_system_vgpr_workitem_id 2
		.amdhsa_next_free_vgpr 17
		.amdhsa_next_free_sgpr 44
		.amdhsa_reserve_vcc 1
		.amdhsa_float_round_mode_32 0
		.amdhsa_float_round_mode_16_64 0
		.amdhsa_float_denorm_mode_32 3
		.amdhsa_float_denorm_mode_16_64 3
		.amdhsa_dx10_clamp 1
		.amdhsa_ieee_mode 1
		.amdhsa_fp16_overflow 0
		.amdhsa_workgroup_processor_mode 1
		.amdhsa_memory_ordered 1
		.amdhsa_forward_progress 0
		.amdhsa_shared_vgpr_count 0
		.amdhsa_exception_fp_ieee_invalid_op 0
		.amdhsa_exception_fp_denorm_src 0
		.amdhsa_exception_fp_ieee_div_zero 0
		.amdhsa_exception_fp_ieee_overflow 0
		.amdhsa_exception_fp_ieee_underflow 0
		.amdhsa_exception_fp_ieee_inexact 0
		.amdhsa_exception_int_div_zero 0
	.end_amdhsa_kernel
	.section	.text._ZL11k_bin_bcastIXadL_ZL6op_mulffEE6__halfS0_S0_JPKS0_S2_S2_EEvPKT0_PKT1_PT2_iii15HIP_vector_typeIjLj3EESC_SC_SC_SC_iiiiiiiiiiiDpT3_,"axG",@progbits,_ZL11k_bin_bcastIXadL_ZL6op_mulffEE6__halfS0_S0_JPKS0_S2_S2_EEvPKT0_PKT1_PT2_iii15HIP_vector_typeIjLj3EESC_SC_SC_SC_iiiiiiiiiiiDpT3_,comdat
.Lfunc_end107:
	.size	_ZL11k_bin_bcastIXadL_ZL6op_mulffEE6__halfS0_S0_JPKS0_S2_S2_EEvPKT0_PKT1_PT2_iii15HIP_vector_typeIjLj3EESC_SC_SC_SC_iiiiiiiiiiiDpT3_, .Lfunc_end107-_ZL11k_bin_bcastIXadL_ZL6op_mulffEE6__halfS0_S0_JPKS0_S2_S2_EEvPKT0_PKT1_PT2_iii15HIP_vector_typeIjLj3EESC_SC_SC_SC_iiiiiiiiiiiDpT3_
                                        ; -- End function
	.section	.AMDGPU.csdata,"",@progbits
; Kernel info:
; codeLenInByte = 952
; NumSgprs: 46
; NumVgprs: 17
; ScratchSize: 0
; MemoryBound: 0
; FloatMode: 240
; IeeeMode: 1
; LDSByteSize: 0 bytes/workgroup (compile time only)
; SGPRBlocks: 5
; VGPRBlocks: 2
; NumSGPRsForWavesPerEU: 46
; NumVGPRsForWavesPerEU: 17
; Occupancy: 16
; WaveLimiterHint : 1
; COMPUTE_PGM_RSRC2:SCRATCH_EN: 0
; COMPUTE_PGM_RSRC2:USER_SGPR: 13
; COMPUTE_PGM_RSRC2:TRAP_HANDLER: 0
; COMPUTE_PGM_RSRC2:TGID_X_EN: 1
; COMPUTE_PGM_RSRC2:TGID_Y_EN: 1
; COMPUTE_PGM_RSRC2:TGID_Z_EN: 1
; COMPUTE_PGM_RSRC2:TIDIG_COMP_CNT: 2
	.section	.text._ZL19k_bin_bcast_unravelIXadL_ZL6op_mulffEE6__halffS0_JPKfS2_S2_EEvPKT0_PKT1_PT2_15HIP_vector_typeIjLj3EESC_SC_jSC_SC_SC_SC_SC_SC_iiiiiiiiiiiDpT3_,"axG",@progbits,_ZL19k_bin_bcast_unravelIXadL_ZL6op_mulffEE6__halffS0_JPKfS2_S2_EEvPKT0_PKT1_PT2_15HIP_vector_typeIjLj3EESC_SC_jSC_SC_SC_SC_SC_SC_iiiiiiiiiiiDpT3_,comdat
	.globl	_ZL19k_bin_bcast_unravelIXadL_ZL6op_mulffEE6__halffS0_JPKfS2_S2_EEvPKT0_PKT1_PT2_15HIP_vector_typeIjLj3EESC_SC_jSC_SC_SC_SC_SC_SC_iiiiiiiiiiiDpT3_ ; -- Begin function _ZL19k_bin_bcast_unravelIXadL_ZL6op_mulffEE6__halffS0_JPKfS2_S2_EEvPKT0_PKT1_PT2_15HIP_vector_typeIjLj3EESC_SC_jSC_SC_SC_SC_SC_SC_iiiiiiiiiiiDpT3_
	.p2align	8
	.type	_ZL19k_bin_bcast_unravelIXadL_ZL6op_mulffEE6__halffS0_JPKfS2_S2_EEvPKT0_PKT1_PT2_15HIP_vector_typeIjLj3EESC_SC_jSC_SC_SC_SC_SC_SC_iiiiiiiiiiiDpT3_,@function
_ZL19k_bin_bcast_unravelIXadL_ZL6op_mulffEE6__halffS0_JPKfS2_S2_EEvPKT0_PKT1_PT2_15HIP_vector_typeIjLj3EESC_SC_jSC_SC_SC_SC_SC_SC_iiiiiiiiiiiDpT3_: ; @_ZL19k_bin_bcast_unravelIXadL_ZL6op_mulffEE6__halffS0_JPKfS2_S2_EEvPKT0_PKT1_PT2_15HIP_vector_typeIjLj3EESC_SC_jSC_SC_SC_SC_SC_SC_iiiiiiiiiiiDpT3_
; %bb.0:
	s_clause 0x1
	s_load_b32 s2, s[0:1], 0xdc
	s_load_b256 s[4:11], s[0:1], 0x38
	s_waitcnt lgkmcnt(0)
	s_and_b32 s2, s2, 0xffff
	s_delay_alu instid0(SALU_CYCLE_1) | instskip(SKIP_3) | instid1(VALU_DEP_1)
	v_mad_u64_u32 v[2:3], null, s15, s2, v[0:1]
	s_clause 0x1
	s_load_b128 s[12:15], s[0:1], 0x18
	s_load_b32 s2, s[0:1], 0x2c
	v_mul_hi_u32 v0, v2, s6
	s_delay_alu instid0(VALU_DEP_1) | instskip(NEXT) | instid1(VALU_DEP_1)
	v_add_nc_u32_e32 v0, v2, v0
	v_lshrrev_b32_e32 v1, s7, v0
	s_delay_alu instid0(VALU_DEP_1) | instskip(NEXT) | instid1(VALU_DEP_1)
	v_mul_lo_u32 v0, v1, s8
	v_sub_nc_u32_e32 v0, v2, v0
	s_delay_alu instid0(VALU_DEP_1) | instskip(NEXT) | instid1(VALU_DEP_1)
	v_mul_hi_u32 v2, v0, s9
	v_add_nc_u32_e32 v2, v0, v2
	s_delay_alu instid0(VALU_DEP_1) | instskip(NEXT) | instid1(VALU_DEP_1)
	v_lshrrev_b32_e32 v2, s10, v2
	v_mul_lo_u32 v3, v2, s11
	v_cmp_gt_u32_e64 s3, s4, v2
	v_cmp_gt_u32_e64 s4, s5, v1
	s_delay_alu instid0(VALU_DEP_3) | instskip(SKIP_1) | instid1(VALU_DEP_1)
	v_sub_nc_u32_e32 v0, v0, v3
	s_waitcnt lgkmcnt(0)
	v_mul_hi_u32 v3, v0, s12
	s_delay_alu instid0(VALU_DEP_1) | instskip(NEXT) | instid1(VALU_DEP_1)
	v_add_nc_u32_e32 v3, v0, v3
	v_lshrrev_b32_e32 v3, s13, v3
	s_delay_alu instid0(VALU_DEP_1) | instskip(SKIP_1) | instid1(VALU_DEP_2)
	v_mul_lo_u32 v4, v3, s14
	v_cmp_gt_u32_e64 s2, s2, v3
	v_sub_nc_u32_e32 v0, v0, v4
	s_delay_alu instid0(VALU_DEP_1) | instskip(NEXT) | instid1(VALU_DEP_3)
	v_cmp_gt_u32_e32 vcc_lo, s14, v0
	s_and_b32 s2, vcc_lo, s2
	s_delay_alu instid0(SALU_CYCLE_1) | instskip(NEXT) | instid1(SALU_CYCLE_1)
	s_and_b32 s2, s2, s3
	s_and_b32 s2, s4, s2
	s_delay_alu instid0(SALU_CYCLE_1)
	s_and_saveexec_b32 s3, s2
	s_cbranch_execz .LBB108_5
; %bb.1:
	s_clause 0x4
	s_load_b64 s[2:3], s[0:1], 0x0
	s_load_b128 s[20:23], s[0:1], 0xa8
	s_load_b256 s[4:11], s[0:1], 0x88
	s_load_b128 s[24:27], s[0:1], 0x78
	s_load_b256 s[12:19], s[0:1], 0x58
	s_waitcnt lgkmcnt(0)
	s_cmp_eq_u64 s[2:3], 0
	s_cbranch_scc1 .LBB108_3
; %bb.2:
	v_mul_lo_u32 v4, v1, s10
	v_mul_lo_u32 v6, v2, s9
	;; [unrolled: 1-line block ×3, first 2 shown]
	v_mov_b32_e32 v5, 0
	s_delay_alu instid0(VALU_DEP_2) | instskip(NEXT) | instid1(VALU_DEP_1)
	v_add3_u32 v4, v6, v4, v7
	v_lshlrev_b64 v[6:7], 1, v[4:5]
	v_mul_lo_u32 v4, v0, s7
	s_delay_alu instid0(VALU_DEP_2) | instskip(NEXT) | instid1(VALU_DEP_3)
	v_add_co_u32 v6, vcc_lo, s2, v6
	v_add_co_ci_u32_e32 v7, vcc_lo, s3, v7, vcc_lo
	s_delay_alu instid0(VALU_DEP_3) | instskip(NEXT) | instid1(VALU_DEP_1)
	v_lshlrev_b64 v[4:5], 1, v[4:5]
	v_add_co_u32 v4, vcc_lo, v6, v4
	s_delay_alu instid0(VALU_DEP_2)
	v_add_co_ci_u32_e32 v5, vcc_lo, v7, v5, vcc_lo
	global_load_u16 v4, v[4:5], off
	s_waitcnt vmcnt(0)
	v_cvt_f32_f16_e32 v4, v4
	s_branch .LBB108_4
.LBB108_3:
	v_mov_b32_e32 v4, 0
.LBB108_4:
	v_mul_hi_u32 v5, s25, v1
	v_mul_hi_u32 v6, s18, v2
	;; [unrolled: 1-line block ×4, first 2 shown]
	s_load_b64 s[2:3], s[0:1], 0xc8
	s_delay_alu instid0(VALU_DEP_4) | instskip(NEXT) | instid1(VALU_DEP_4)
	v_add_nc_u32_e32 v5, v1, v5
	v_add_nc_u32_e32 v6, v2, v6
	s_delay_alu instid0(VALU_DEP_4) | instskip(NEXT) | instid1(VALU_DEP_4)
	v_add_nc_u32_e32 v7, v3, v7
	v_add_nc_u32_e32 v8, v0, v8
	s_delay_alu instid0(VALU_DEP_4) | instskip(NEXT) | instid1(VALU_DEP_4)
	v_lshrrev_b32_e32 v5, s26, v5
	v_lshrrev_b32_e32 v6, s19, v6
	s_delay_alu instid0(VALU_DEP_4) | instskip(NEXT) | instid1(VALU_DEP_4)
	v_lshrrev_b32_e32 v7, s16, v7
	v_lshrrev_b32_e32 v8, s13, v8
	s_delay_alu instid0(VALU_DEP_4) | instskip(NEXT) | instid1(VALU_DEP_4)
	v_mul_lo_u32 v5, v5, s27
	v_mul_lo_u32 v6, v6, s24
	s_delay_alu instid0(VALU_DEP_4) | instskip(NEXT) | instid1(VALU_DEP_4)
	v_mul_lo_u32 v7, v7, s17
	v_mul_lo_u32 v8, v8, s14
	s_delay_alu instid0(VALU_DEP_4) | instskip(NEXT) | instid1(VALU_DEP_4)
	v_sub_nc_u32_e32 v5, v1, v5
	v_sub_nc_u32_e32 v6, v2, v6
	s_delay_alu instid0(VALU_DEP_4) | instskip(NEXT) | instid1(VALU_DEP_4)
	v_sub_nc_u32_e32 v7, v3, v7
	v_sub_nc_u32_e32 v8, v0, v8
	v_mul_lo_u32 v1, v1, s6
	v_mul_lo_u32 v5, v5, s22
	;; [unrolled: 1-line block ×5, first 2 shown]
	s_clause 0x1
	s_load_b128 s[8:11], s[0:1], 0xb8
	s_load_b64 s[0:1], s[0:1], 0x10
	v_mul_lo_u32 v2, v2, s5
	s_delay_alu instid0(VALU_DEP_3) | instskip(NEXT) | instid1(VALU_DEP_3)
	v_add3_u32 v5, v6, v5, v7
	v_ashrrev_i32_e32 v6, 31, v8
	s_delay_alu instid0(VALU_DEP_2) | instskip(SKIP_1) | instid1(VALU_DEP_2)
	v_ashrrev_i32_e32 v7, 31, v5
	v_add_co_u32 v5, vcc_lo, v8, v5
	v_add_co_ci_u32_e32 v6, vcc_lo, v6, v7, vcc_lo
	s_delay_alu instid0(VALU_DEP_1) | instskip(SKIP_1) | instid1(VALU_DEP_1)
	v_lshlrev_b64 v[5:6], 2, v[5:6]
	s_waitcnt lgkmcnt(0)
	v_add_co_u32 v7, vcc_lo, s8, v5
	s_delay_alu instid0(VALU_DEP_2)
	v_add_co_ci_u32_e32 v8, vcc_lo, s9, v6, vcc_lo
	v_add_co_u32 v9, vcc_lo, s10, v5
	v_add_co_ci_u32_e32 v10, vcc_lo, s11, v6, vcc_lo
	global_load_b32 v7, v[7:8], off
	v_add_co_u32 v5, vcc_lo, s2, v5
	v_add_co_ci_u32_e32 v6, vcc_lo, s3, v6, vcc_lo
	global_load_b32 v8, v[9:10], off
	global_load_b32 v5, v[5:6], off
	v_mul_lo_u32 v6, v3, s4
	v_mov_b32_e32 v3, 0
	s_delay_alu instid0(VALU_DEP_2) | instskip(NEXT) | instid1(VALU_DEP_2)
	v_add3_u32 v2, v2, v1, v6
	v_mov_b32_e32 v1, v3
	s_delay_alu instid0(VALU_DEP_2) | instskip(NEXT) | instid1(VALU_DEP_2)
	v_lshlrev_b64 v[2:3], 1, v[2:3]
	v_lshlrev_b64 v[0:1], 1, v[0:1]
	s_delay_alu instid0(VALU_DEP_2) | instskip(NEXT) | instid1(VALU_DEP_3)
	v_add_co_u32 v2, vcc_lo, s0, v2
	v_add_co_ci_u32_e32 v3, vcc_lo, s1, v3, vcc_lo
	s_delay_alu instid0(VALU_DEP_2) | instskip(NEXT) | instid1(VALU_DEP_2)
	v_add_co_u32 v0, vcc_lo, v2, v0
	v_add_co_ci_u32_e32 v1, vcc_lo, v3, v1, vcc_lo
	s_waitcnt vmcnt(2)
	v_mul_f32_e32 v4, v4, v7
	s_waitcnt vmcnt(1)
	s_delay_alu instid0(VALU_DEP_1) | instskip(SKIP_1) | instid1(VALU_DEP_1)
	v_mul_f32_e32 v4, v4, v8
	s_waitcnt vmcnt(0)
	v_fma_mixlo_f16 v4, v4, v5, 0
	global_store_b16 v[0:1], v4, off
.LBB108_5:
	s_nop 0
	s_sendmsg sendmsg(MSG_DEALLOC_VGPRS)
	s_endpgm
	.section	.rodata,"a",@progbits
	.p2align	6, 0x0
	.amdhsa_kernel _ZL19k_bin_bcast_unravelIXadL_ZL6op_mulffEE6__halffS0_JPKfS2_S2_EEvPKT0_PKT1_PT2_15HIP_vector_typeIjLj3EESC_SC_jSC_SC_SC_SC_SC_SC_iiiiiiiiiiiDpT3_
		.amdhsa_group_segment_fixed_size 0
		.amdhsa_private_segment_fixed_size 0
		.amdhsa_kernarg_size 464
		.amdhsa_user_sgpr_count 15
		.amdhsa_user_sgpr_dispatch_ptr 0
		.amdhsa_user_sgpr_queue_ptr 0
		.amdhsa_user_sgpr_kernarg_segment_ptr 1
		.amdhsa_user_sgpr_dispatch_id 0
		.amdhsa_user_sgpr_private_segment_size 0
		.amdhsa_wavefront_size32 1
		.amdhsa_uses_dynamic_stack 0
		.amdhsa_enable_private_segment 0
		.amdhsa_system_sgpr_workgroup_id_x 1
		.amdhsa_system_sgpr_workgroup_id_y 0
		.amdhsa_system_sgpr_workgroup_id_z 0
		.amdhsa_system_sgpr_workgroup_info 0
		.amdhsa_system_vgpr_workitem_id 0
		.amdhsa_next_free_vgpr 11
		.amdhsa_next_free_sgpr 28
		.amdhsa_reserve_vcc 1
		.amdhsa_float_round_mode_32 0
		.amdhsa_float_round_mode_16_64 0
		.amdhsa_float_denorm_mode_32 3
		.amdhsa_float_denorm_mode_16_64 3
		.amdhsa_dx10_clamp 1
		.amdhsa_ieee_mode 1
		.amdhsa_fp16_overflow 0
		.amdhsa_workgroup_processor_mode 1
		.amdhsa_memory_ordered 1
		.amdhsa_forward_progress 0
		.amdhsa_shared_vgpr_count 0
		.amdhsa_exception_fp_ieee_invalid_op 0
		.amdhsa_exception_fp_denorm_src 0
		.amdhsa_exception_fp_ieee_div_zero 0
		.amdhsa_exception_fp_ieee_overflow 0
		.amdhsa_exception_fp_ieee_underflow 0
		.amdhsa_exception_fp_ieee_inexact 0
		.amdhsa_exception_int_div_zero 0
	.end_amdhsa_kernel
	.section	.text._ZL19k_bin_bcast_unravelIXadL_ZL6op_mulffEE6__halffS0_JPKfS2_S2_EEvPKT0_PKT1_PT2_15HIP_vector_typeIjLj3EESC_SC_jSC_SC_SC_SC_SC_SC_iiiiiiiiiiiDpT3_,"axG",@progbits,_ZL19k_bin_bcast_unravelIXadL_ZL6op_mulffEE6__halffS0_JPKfS2_S2_EEvPKT0_PKT1_PT2_15HIP_vector_typeIjLj3EESC_SC_jSC_SC_SC_SC_SC_SC_iiiiiiiiiiiDpT3_,comdat
.Lfunc_end108:
	.size	_ZL19k_bin_bcast_unravelIXadL_ZL6op_mulffEE6__halffS0_JPKfS2_S2_EEvPKT0_PKT1_PT2_15HIP_vector_typeIjLj3EESC_SC_jSC_SC_SC_SC_SC_SC_iiiiiiiiiiiDpT3_, .Lfunc_end108-_ZL19k_bin_bcast_unravelIXadL_ZL6op_mulffEE6__halffS0_JPKfS2_S2_EEvPKT0_PKT1_PT2_15HIP_vector_typeIjLj3EESC_SC_jSC_SC_SC_SC_SC_SC_iiiiiiiiiiiDpT3_
                                        ; -- End function
	.section	.AMDGPU.csdata,"",@progbits
; Kernel info:
; codeLenInByte = 888
; NumSgprs: 30
; NumVgprs: 11
; ScratchSize: 0
; MemoryBound: 0
; FloatMode: 240
; IeeeMode: 1
; LDSByteSize: 0 bytes/workgroup (compile time only)
; SGPRBlocks: 3
; VGPRBlocks: 1
; NumSGPRsForWavesPerEU: 30
; NumVGPRsForWavesPerEU: 11
; Occupancy: 16
; WaveLimiterHint : 1
; COMPUTE_PGM_RSRC2:SCRATCH_EN: 0
; COMPUTE_PGM_RSRC2:USER_SGPR: 15
; COMPUTE_PGM_RSRC2:TRAP_HANDLER: 0
; COMPUTE_PGM_RSRC2:TGID_X_EN: 1
; COMPUTE_PGM_RSRC2:TGID_Y_EN: 0
; COMPUTE_PGM_RSRC2:TGID_Z_EN: 0
; COMPUTE_PGM_RSRC2:TIDIG_COMP_CNT: 0
	.section	.text._ZL11k_bin_bcastIXadL_ZL6op_mulffEE6__halffS0_JPKfS2_S2_EEvPKT0_PKT1_PT2_iii15HIP_vector_typeIjLj3EESC_SC_SC_SC_iiiiiiiiiiiDpT3_,"axG",@progbits,_ZL11k_bin_bcastIXadL_ZL6op_mulffEE6__halffS0_JPKfS2_S2_EEvPKT0_PKT1_PT2_iii15HIP_vector_typeIjLj3EESC_SC_SC_SC_iiiiiiiiiiiDpT3_,comdat
	.globl	_ZL11k_bin_bcastIXadL_ZL6op_mulffEE6__halffS0_JPKfS2_S2_EEvPKT0_PKT1_PT2_iii15HIP_vector_typeIjLj3EESC_SC_SC_SC_iiiiiiiiiiiDpT3_ ; -- Begin function _ZL11k_bin_bcastIXadL_ZL6op_mulffEE6__halffS0_JPKfS2_S2_EEvPKT0_PKT1_PT2_iii15HIP_vector_typeIjLj3EESC_SC_SC_SC_iiiiiiiiiiiDpT3_
	.p2align	8
	.type	_ZL11k_bin_bcastIXadL_ZL6op_mulffEE6__halffS0_JPKfS2_S2_EEvPKT0_PKT1_PT2_iii15HIP_vector_typeIjLj3EESC_SC_SC_SC_iiiiiiiiiiiDpT3_,@function
_ZL11k_bin_bcastIXadL_ZL6op_mulffEE6__halffS0_JPKfS2_S2_EEvPKT0_PKT1_PT2_iii15HIP_vector_typeIjLj3EESC_SC_SC_SC_iiiiiiiiiiiDpT3_: ; @_ZL11k_bin_bcastIXadL_ZL6op_mulffEE6__halffS0_JPKfS2_S2_EEvPKT0_PKT1_PT2_iii15HIP_vector_typeIjLj3EESC_SC_SC_SC_iiiiiiiiiiiDpT3_
; %bb.0:
	s_clause 0x1
	s_load_b64 s[2:3], s[0:1], 0xb4
	s_load_b256 s[16:23], s[0:1], 0x18
	v_bfe_u32 v1, v0, 20, 10
	s_add_u32 s34, s0, 0xa8
	s_addc_u32 s35, s1, 0
	s_waitcnt lgkmcnt(0)
	s_and_b32 s3, s3, 0xffff
	s_and_b32 s12, s2, 0xffff
	v_mad_u64_u32 v[4:5], null, s15, s3, v[1:2]
	v_and_b32_e32 v2, 0x3ff, v0
	v_bfe_u32 v5, v0, 10, 10
	s_lshr_b32 s3, s2, 16
	s_delay_alu instid0(VALU_DEP_3) | instskip(NEXT) | instid1(VALU_DEP_1)
	v_mul_hi_u32 v1, v4, s19
	v_add_nc_u32_e32 v1, v4, v1
	s_delay_alu instid0(VALU_DEP_1) | instskip(NEXT) | instid1(VALU_DEP_1)
	v_lshrrev_b32_e32 v3, s20, v1
	v_mul_lo_u32 v6, v3, s21
	v_mad_u64_u32 v[0:1], null, s13, s12, v[2:3]
	s_delay_alu instid0(VALU_DEP_2) | instskip(SKIP_1) | instid1(VALU_DEP_3)
	v_mad_u64_u32 v[1:2], null, s14, s3, v[5:6]
	v_sub_nc_u32_e32 v4, v4, v6
	v_cmp_gt_u32_e32 vcc_lo, s16, v0
	v_cmp_gt_u32_e64 s3, s18, v3
	s_delay_alu instid0(VALU_DEP_3) | instskip(SKIP_1) | instid1(VALU_DEP_1)
	v_cmp_gt_u32_e64 s4, s21, v4
	v_cmp_gt_u32_e64 s2, s17, v1
	s_and_b32 s2, vcc_lo, s2
	s_delay_alu instid0(VALU_DEP_3) | instid1(SALU_CYCLE_1)
	s_and_b32 s2, s2, s3
	s_delay_alu instid0(VALU_DEP_2) | instid1(SALU_CYCLE_1)
	s_and_b32 s2, s2, s4
	s_delay_alu instid0(SALU_CYCLE_1)
	s_and_saveexec_b32 s3, s2
	s_cbranch_execz .LBB109_6
; %bb.1:
	v_cmp_gt_i32_e32 vcc_lo, s16, v0
	s_and_b32 exec_lo, exec_lo, vcc_lo
	s_cbranch_execz .LBB109_6
; %bb.2:
	s_clause 0x2
	s_load_b256 s[36:43], s[0:1], 0x3c
	s_load_b256 s[4:11], s[0:1], 0x60
	;; [unrolled: 1-line block ×3, first 2 shown]
	s_load_b32 s13, s[34:35], 0x0
	s_clause 0x1
	s_load_b32 s2, s[0:1], 0x5c
	s_load_b64 s[14:15], s[0:1], 0x0
	s_waitcnt lgkmcnt(0)
	v_mul_hi_u32 v2, s36, v1
	v_mul_hi_u32 v5, s39, v3
	;; [unrolled: 1-line block ×3, first 2 shown]
	v_mul_lo_u32 v9, v4, s10
	v_mul_lo_u32 v10, v3, s9
	;; [unrolled: 1-line block ×3, first 2 shown]
	v_mov_b32_e32 v6, 0
	v_mul_lo_u32 v13, v3, s5
	v_add_nc_u32_e32 v2, v1, v2
	v_add_nc_u32_e32 v5, v3, v5
	s_delay_alu instid0(VALU_DEP_4) | instskip(SKIP_1) | instid1(VALU_DEP_4)
	v_dual_mov_b32 v8, v6 :: v_dual_add_nc_u32 v7, v4, v7
	v_mul_lo_u32 v14, v1, s4
	v_lshrrev_b32_e32 v2, s37, v2
	s_delay_alu instid0(VALU_DEP_4) | instskip(NEXT) | instid1(VALU_DEP_4)
	v_lshrrev_b32_e32 v15, s40, v5
	v_lshrrev_b32_e32 v16, s43, v7
	s_clause 0x1
	s_load_b32 s8, s[0:1], 0x38
	s_load_b64 s[4:5], s[0:1], 0x10
	v_add3_u32 v5, v10, v11, v9
	v_mul_lo_u32 v12, v4, s6
	v_mul_lo_u32 v9, v2, s38
	v_mul_lo_u32 v10, v15, s41
	v_mul_lo_u32 v11, v16, s2
	v_lshlrev_b64 v[5:6], 1, v[5:6]
	s_load_b64 s[2:3], s[0:1], 0xa0
	s_cmp_lg_u64 s[14:15], 0
	v_mul_lo_u32 v2, s7, v0
	v_add3_u32 v7, v13, v14, v12
	v_sub_nc_u32_e32 v1, v1, v9
	v_sub_nc_u32_e32 v3, v3, v10
	;; [unrolled: 1-line block ×3, first 2 shown]
	v_add_co_u32 v9, vcc_lo, s14, v5
	v_add_co_ci_u32_e32 v5, vcc_lo, s15, v6, vcc_lo
	v_lshlrev_b64 v[7:8], 1, v[7:8]
	s_delay_alu instid0(VALU_DEP_4)
	v_mul_lo_u32 v10, v4, s26
	v_mul_lo_u32 v3, v3, s25
	;; [unrolled: 1-line block ×3, first 2 shown]
	s_cselect_b32 vcc_lo, -1, 0
	v_cndmask_b32_e32 v5, 0, v5, vcc_lo
	v_cndmask_b32_e32 v4, 0, v9, vcc_lo
	s_waitcnt lgkmcnt(0)
	v_add_co_u32 v6, vcc_lo, s4, v7
	v_add_co_ci_u32_e32 v7, vcc_lo, s5, v8, vcc_lo
	s_delay_alu instid0(VALU_DEP_3)
	v_cmp_ne_u64_e32 vcc_lo, 0, v[4:5]
	v_add3_u32 v8, v3, v10, v1
	s_mul_i32 s4, s13, s12
	s_mov_b32 s5, 0
	s_mul_i32 s6, s4, s7
	s_sub_i32 s7, 0, s8
	s_branch .LBB109_4
.LBB109_3:                              ;   in Loop: Header=BB109_4 Depth=1
	s_or_b32 exec_lo, exec_lo, s1
	v_mul_hi_u32 v1, s22, v0
	v_add_nc_u32_e32 v2, s6, v2
	s_delay_alu instid0(VALU_DEP_2) | instskip(NEXT) | instid1(VALU_DEP_1)
	v_add_nc_u32_e32 v1, v0, v1
	v_lshrrev_b32_e32 v1, s23, v1
	s_delay_alu instid0(VALU_DEP_1) | instskip(NEXT) | instid1(VALU_DEP_1)
	v_mad_u64_u32 v[9:10], null, s7, v1, v[0:1]
	v_mul_lo_u32 v1, v9, s11
	s_delay_alu instid0(VALU_DEP_1) | instskip(NEXT) | instid1(VALU_DEP_1)
	v_add_co_u32 v9, s0, v1, v8
	v_add_co_ci_u32_e64 v10, null, 0, 0, s0
	v_ashrrev_i32_e32 v1, 31, v0
	s_delay_alu instid0(VALU_DEP_2) | instskip(NEXT) | instid1(VALU_DEP_1)
	v_lshlrev_b64 v[9:10], 2, v[9:10]
	v_add_co_u32 v11, s0, s28, v9
	s_delay_alu instid0(VALU_DEP_1) | instskip(SKIP_1) | instid1(VALU_DEP_1)
	v_add_co_ci_u32_e64 v12, s0, s29, v10, s0
	v_add_co_u32 v13, s0, s30, v9
	v_add_co_ci_u32_e64 v14, s0, s31, v10, s0
	global_load_b32 v11, v[11:12], off
	v_add_co_u32 v9, s0, s2, v9
	s_delay_alu instid0(VALU_DEP_1) | instskip(SKIP_4) | instid1(VALU_DEP_1)
	v_add_co_ci_u32_e64 v10, s0, s3, v10, s0
	global_load_b32 v12, v[13:14], off
	global_load_b32 v13, v[9:10], off
	v_lshlrev_b64 v[9:10], 1, v[0:1]
	v_add_nc_u32_e32 v0, s4, v0
	v_cmp_le_i32_e64 s0, s16, v0
	s_delay_alu instid0(VALU_DEP_3) | instskip(NEXT) | instid1(VALU_DEP_1)
	v_add_co_u32 v9, s1, v6, v9
	v_add_co_ci_u32_e64 v10, s1, v7, v10, s1
	s_delay_alu instid0(VALU_DEP_3) | instskip(SKIP_3) | instid1(VALU_DEP_1)
	s_or_b32 s5, s0, s5
	s_waitcnt vmcnt(2)
	v_mul_f32_e32 v3, v3, v11
	s_waitcnt vmcnt(1)
	v_mul_f32_e32 v1, v3, v12
	s_waitcnt vmcnt(0)
	s_delay_alu instid0(VALU_DEP_1)
	v_fma_mixlo_f16 v1, v1, v13, 0
	global_store_b16 v[9:10], v1, off
	s_and_not1_b32 exec_lo, exec_lo, s5
	s_cbranch_execz .LBB109_6
.LBB109_4:                              ; =>This Inner Loop Header: Depth=1
	v_mov_b32_e32 v3, 0
	s_and_saveexec_b32 s1, vcc_lo
	s_cbranch_execz .LBB109_3
; %bb.5:                                ;   in Loop: Header=BB109_4 Depth=1
	v_ashrrev_i32_e32 v3, 31, v2
	s_delay_alu instid0(VALU_DEP_1) | instskip(NEXT) | instid1(VALU_DEP_1)
	v_lshlrev_b64 v[9:10], 1, v[2:3]
	v_add_co_u32 v9, s0, v4, v9
	s_delay_alu instid0(VALU_DEP_1)
	v_add_co_ci_u32_e64 v10, s0, v5, v10, s0
	global_load_u16 v1, v[9:10], off
	s_waitcnt vmcnt(0)
	v_cvt_f32_f16_e32 v3, v1
	s_branch .LBB109_3
.LBB109_6:
	s_nop 0
	s_sendmsg sendmsg(MSG_DEALLOC_VGPRS)
	s_endpgm
	.section	.rodata,"a",@progbits
	.p2align	6, 0x0
	.amdhsa_kernel _ZL11k_bin_bcastIXadL_ZL6op_mulffEE6__halffS0_JPKfS2_S2_EEvPKT0_PKT1_PT2_iii15HIP_vector_typeIjLj3EESC_SC_SC_SC_iiiiiiiiiiiDpT3_
		.amdhsa_group_segment_fixed_size 0
		.amdhsa_private_segment_fixed_size 0
		.amdhsa_kernarg_size 424
		.amdhsa_user_sgpr_count 13
		.amdhsa_user_sgpr_dispatch_ptr 0
		.amdhsa_user_sgpr_queue_ptr 0
		.amdhsa_user_sgpr_kernarg_segment_ptr 1
		.amdhsa_user_sgpr_dispatch_id 0
		.amdhsa_user_sgpr_private_segment_size 0
		.amdhsa_wavefront_size32 1
		.amdhsa_uses_dynamic_stack 0
		.amdhsa_enable_private_segment 0
		.amdhsa_system_sgpr_workgroup_id_x 1
		.amdhsa_system_sgpr_workgroup_id_y 1
		.amdhsa_system_sgpr_workgroup_id_z 1
		.amdhsa_system_sgpr_workgroup_info 0
		.amdhsa_system_vgpr_workitem_id 2
		.amdhsa_next_free_vgpr 17
		.amdhsa_next_free_sgpr 44
		.amdhsa_reserve_vcc 1
		.amdhsa_float_round_mode_32 0
		.amdhsa_float_round_mode_16_64 0
		.amdhsa_float_denorm_mode_32 3
		.amdhsa_float_denorm_mode_16_64 3
		.amdhsa_dx10_clamp 1
		.amdhsa_ieee_mode 1
		.amdhsa_fp16_overflow 0
		.amdhsa_workgroup_processor_mode 1
		.amdhsa_memory_ordered 1
		.amdhsa_forward_progress 0
		.amdhsa_shared_vgpr_count 0
		.amdhsa_exception_fp_ieee_invalid_op 0
		.amdhsa_exception_fp_denorm_src 0
		.amdhsa_exception_fp_ieee_div_zero 0
		.amdhsa_exception_fp_ieee_overflow 0
		.amdhsa_exception_fp_ieee_underflow 0
		.amdhsa_exception_fp_ieee_inexact 0
		.amdhsa_exception_int_div_zero 0
	.end_amdhsa_kernel
	.section	.text._ZL11k_bin_bcastIXadL_ZL6op_mulffEE6__halffS0_JPKfS2_S2_EEvPKT0_PKT1_PT2_iii15HIP_vector_typeIjLj3EESC_SC_SC_SC_iiiiiiiiiiiDpT3_,"axG",@progbits,_ZL11k_bin_bcastIXadL_ZL6op_mulffEE6__halffS0_JPKfS2_S2_EEvPKT0_PKT1_PT2_iii15HIP_vector_typeIjLj3EESC_SC_SC_SC_iiiiiiiiiiiDpT3_,comdat
.Lfunc_end109:
	.size	_ZL11k_bin_bcastIXadL_ZL6op_mulffEE6__halffS0_JPKfS2_S2_EEvPKT0_PKT1_PT2_iii15HIP_vector_typeIjLj3EESC_SC_SC_SC_iiiiiiiiiiiDpT3_, .Lfunc_end109-_ZL11k_bin_bcastIXadL_ZL6op_mulffEE6__halffS0_JPKfS2_S2_EEvPKT0_PKT1_PT2_iii15HIP_vector_typeIjLj3EESC_SC_SC_SC_iiiiiiiiiiiDpT3_
                                        ; -- End function
	.section	.AMDGPU.csdata,"",@progbits
; Kernel info:
; codeLenInByte = 944
; NumSgprs: 46
; NumVgprs: 17
; ScratchSize: 0
; MemoryBound: 0
; FloatMode: 240
; IeeeMode: 1
; LDSByteSize: 0 bytes/workgroup (compile time only)
; SGPRBlocks: 5
; VGPRBlocks: 2
; NumSGPRsForWavesPerEU: 46
; NumVGPRsForWavesPerEU: 17
; Occupancy: 16
; WaveLimiterHint : 1
; COMPUTE_PGM_RSRC2:SCRATCH_EN: 0
; COMPUTE_PGM_RSRC2:USER_SGPR: 13
; COMPUTE_PGM_RSRC2:TRAP_HANDLER: 0
; COMPUTE_PGM_RSRC2:TGID_X_EN: 1
; COMPUTE_PGM_RSRC2:TGID_Y_EN: 1
; COMPUTE_PGM_RSRC2:TGID_Z_EN: 1
; COMPUTE_PGM_RSRC2:TIDIG_COMP_CNT: 2
	.section	.text._ZL19k_bin_bcast_unravelIXadL_ZL6op_mulffEE6__halfffJPKfS2_S2_EEvPKT0_PKT1_PT2_15HIP_vector_typeIjLj3EESC_SC_jSC_SC_SC_SC_SC_SC_iiiiiiiiiiiDpT3_,"axG",@progbits,_ZL19k_bin_bcast_unravelIXadL_ZL6op_mulffEE6__halfffJPKfS2_S2_EEvPKT0_PKT1_PT2_15HIP_vector_typeIjLj3EESC_SC_jSC_SC_SC_SC_SC_SC_iiiiiiiiiiiDpT3_,comdat
	.globl	_ZL19k_bin_bcast_unravelIXadL_ZL6op_mulffEE6__halfffJPKfS2_S2_EEvPKT0_PKT1_PT2_15HIP_vector_typeIjLj3EESC_SC_jSC_SC_SC_SC_SC_SC_iiiiiiiiiiiDpT3_ ; -- Begin function _ZL19k_bin_bcast_unravelIXadL_ZL6op_mulffEE6__halfffJPKfS2_S2_EEvPKT0_PKT1_PT2_15HIP_vector_typeIjLj3EESC_SC_jSC_SC_SC_SC_SC_SC_iiiiiiiiiiiDpT3_
	.p2align	8
	.type	_ZL19k_bin_bcast_unravelIXadL_ZL6op_mulffEE6__halfffJPKfS2_S2_EEvPKT0_PKT1_PT2_15HIP_vector_typeIjLj3EESC_SC_jSC_SC_SC_SC_SC_SC_iiiiiiiiiiiDpT3_,@function
_ZL19k_bin_bcast_unravelIXadL_ZL6op_mulffEE6__halfffJPKfS2_S2_EEvPKT0_PKT1_PT2_15HIP_vector_typeIjLj3EESC_SC_jSC_SC_SC_SC_SC_SC_iiiiiiiiiiiDpT3_: ; @_ZL19k_bin_bcast_unravelIXadL_ZL6op_mulffEE6__halfffJPKfS2_S2_EEvPKT0_PKT1_PT2_15HIP_vector_typeIjLj3EESC_SC_jSC_SC_SC_SC_SC_SC_iiiiiiiiiiiDpT3_
; %bb.0:
	s_clause 0x1
	s_load_b32 s2, s[0:1], 0xdc
	s_load_b256 s[4:11], s[0:1], 0x38
	s_waitcnt lgkmcnt(0)
	s_and_b32 s2, s2, 0xffff
	s_delay_alu instid0(SALU_CYCLE_1) | instskip(SKIP_3) | instid1(VALU_DEP_1)
	v_mad_u64_u32 v[2:3], null, s15, s2, v[0:1]
	s_clause 0x1
	s_load_b128 s[12:15], s[0:1], 0x18
	s_load_b32 s2, s[0:1], 0x2c
	v_mul_hi_u32 v0, v2, s6
	s_delay_alu instid0(VALU_DEP_1) | instskip(NEXT) | instid1(VALU_DEP_1)
	v_add_nc_u32_e32 v0, v2, v0
	v_lshrrev_b32_e32 v1, s7, v0
	s_delay_alu instid0(VALU_DEP_1) | instskip(NEXT) | instid1(VALU_DEP_1)
	v_mul_lo_u32 v0, v1, s8
	v_sub_nc_u32_e32 v0, v2, v0
	s_delay_alu instid0(VALU_DEP_1) | instskip(NEXT) | instid1(VALU_DEP_1)
	v_mul_hi_u32 v2, v0, s9
	v_add_nc_u32_e32 v2, v0, v2
	s_delay_alu instid0(VALU_DEP_1) | instskip(NEXT) | instid1(VALU_DEP_1)
	v_lshrrev_b32_e32 v2, s10, v2
	v_mul_lo_u32 v3, v2, s11
	v_cmp_gt_u32_e64 s3, s4, v2
	v_cmp_gt_u32_e64 s4, s5, v1
	s_delay_alu instid0(VALU_DEP_3) | instskip(SKIP_1) | instid1(VALU_DEP_1)
	v_sub_nc_u32_e32 v0, v0, v3
	s_waitcnt lgkmcnt(0)
	v_mul_hi_u32 v3, v0, s12
	s_delay_alu instid0(VALU_DEP_1) | instskip(NEXT) | instid1(VALU_DEP_1)
	v_add_nc_u32_e32 v3, v0, v3
	v_lshrrev_b32_e32 v3, s13, v3
	s_delay_alu instid0(VALU_DEP_1) | instskip(SKIP_1) | instid1(VALU_DEP_2)
	v_mul_lo_u32 v4, v3, s14
	v_cmp_gt_u32_e64 s2, s2, v3
	v_sub_nc_u32_e32 v0, v0, v4
	s_delay_alu instid0(VALU_DEP_1) | instskip(NEXT) | instid1(VALU_DEP_3)
	v_cmp_gt_u32_e32 vcc_lo, s14, v0
	s_and_b32 s2, vcc_lo, s2
	s_delay_alu instid0(SALU_CYCLE_1) | instskip(NEXT) | instid1(SALU_CYCLE_1)
	s_and_b32 s2, s2, s3
	s_and_b32 s2, s4, s2
	s_delay_alu instid0(SALU_CYCLE_1)
	s_and_saveexec_b32 s3, s2
	s_cbranch_execz .LBB110_5
; %bb.1:
	s_clause 0x4
	s_load_b64 s[2:3], s[0:1], 0x0
	s_load_b128 s[20:23], s[0:1], 0xa8
	s_load_b256 s[4:11], s[0:1], 0x88
	s_load_b128 s[24:27], s[0:1], 0x78
	s_load_b256 s[12:19], s[0:1], 0x58
	s_waitcnt lgkmcnt(0)
	s_cmp_eq_u64 s[2:3], 0
	s_cbranch_scc1 .LBB110_3
; %bb.2:
	v_mul_lo_u32 v4, v1, s10
	v_mul_lo_u32 v6, v2, s9
	;; [unrolled: 1-line block ×3, first 2 shown]
	v_mov_b32_e32 v5, 0
	s_delay_alu instid0(VALU_DEP_2) | instskip(NEXT) | instid1(VALU_DEP_1)
	v_add3_u32 v4, v6, v4, v7
	v_lshlrev_b64 v[6:7], 1, v[4:5]
	v_mul_lo_u32 v4, v0, s7
	s_delay_alu instid0(VALU_DEP_2) | instskip(NEXT) | instid1(VALU_DEP_3)
	v_add_co_u32 v6, vcc_lo, s2, v6
	v_add_co_ci_u32_e32 v7, vcc_lo, s3, v7, vcc_lo
	s_delay_alu instid0(VALU_DEP_3) | instskip(NEXT) | instid1(VALU_DEP_1)
	v_lshlrev_b64 v[4:5], 1, v[4:5]
	v_add_co_u32 v4, vcc_lo, v6, v4
	s_delay_alu instid0(VALU_DEP_2)
	v_add_co_ci_u32_e32 v5, vcc_lo, v7, v5, vcc_lo
	global_load_u16 v4, v[4:5], off
	s_waitcnt vmcnt(0)
	v_cvt_f32_f16_e32 v4, v4
	s_branch .LBB110_4
.LBB110_3:
	v_mov_b32_e32 v4, 0
.LBB110_4:
	v_mul_hi_u32 v5, s25, v1
	v_mul_hi_u32 v6, s18, v2
	;; [unrolled: 1-line block ×4, first 2 shown]
	s_load_b64 s[2:3], s[0:1], 0xc8
	s_delay_alu instid0(VALU_DEP_4) | instskip(NEXT) | instid1(VALU_DEP_4)
	v_add_nc_u32_e32 v5, v1, v5
	v_add_nc_u32_e32 v6, v2, v6
	s_delay_alu instid0(VALU_DEP_4) | instskip(NEXT) | instid1(VALU_DEP_4)
	v_add_nc_u32_e32 v7, v3, v7
	v_add_nc_u32_e32 v8, v0, v8
	s_delay_alu instid0(VALU_DEP_4) | instskip(NEXT) | instid1(VALU_DEP_4)
	v_lshrrev_b32_e32 v5, s26, v5
	v_lshrrev_b32_e32 v6, s19, v6
	s_delay_alu instid0(VALU_DEP_4) | instskip(NEXT) | instid1(VALU_DEP_4)
	v_lshrrev_b32_e32 v7, s16, v7
	v_lshrrev_b32_e32 v8, s13, v8
	s_delay_alu instid0(VALU_DEP_4) | instskip(NEXT) | instid1(VALU_DEP_4)
	v_mul_lo_u32 v5, v5, s27
	v_mul_lo_u32 v6, v6, s24
	s_delay_alu instid0(VALU_DEP_4) | instskip(NEXT) | instid1(VALU_DEP_4)
	v_mul_lo_u32 v7, v7, s17
	v_mul_lo_u32 v8, v8, s14
	s_delay_alu instid0(VALU_DEP_4) | instskip(NEXT) | instid1(VALU_DEP_4)
	v_sub_nc_u32_e32 v5, v1, v5
	v_sub_nc_u32_e32 v6, v2, v6
	s_delay_alu instid0(VALU_DEP_4) | instskip(NEXT) | instid1(VALU_DEP_4)
	v_sub_nc_u32_e32 v7, v3, v7
	v_sub_nc_u32_e32 v8, v0, v8
	v_mul_lo_u32 v1, v1, s6
	v_mul_lo_u32 v5, v5, s22
	;; [unrolled: 1-line block ×5, first 2 shown]
	s_clause 0x1
	s_load_b128 s[8:11], s[0:1], 0xb8
	s_load_b64 s[0:1], s[0:1], 0x10
	v_mul_lo_u32 v2, v2, s5
	s_delay_alu instid0(VALU_DEP_3) | instskip(NEXT) | instid1(VALU_DEP_3)
	v_add3_u32 v5, v6, v5, v7
	v_ashrrev_i32_e32 v6, 31, v8
	s_delay_alu instid0(VALU_DEP_2) | instskip(SKIP_1) | instid1(VALU_DEP_2)
	v_ashrrev_i32_e32 v7, 31, v5
	v_add_co_u32 v5, vcc_lo, v8, v5
	v_add_co_ci_u32_e32 v6, vcc_lo, v6, v7, vcc_lo
	s_delay_alu instid0(VALU_DEP_1) | instskip(SKIP_1) | instid1(VALU_DEP_1)
	v_lshlrev_b64 v[5:6], 2, v[5:6]
	s_waitcnt lgkmcnt(0)
	v_add_co_u32 v7, vcc_lo, s8, v5
	s_delay_alu instid0(VALU_DEP_2)
	v_add_co_ci_u32_e32 v8, vcc_lo, s9, v6, vcc_lo
	v_add_co_u32 v9, vcc_lo, s10, v5
	v_add_co_ci_u32_e32 v10, vcc_lo, s11, v6, vcc_lo
	global_load_b32 v7, v[7:8], off
	v_add_co_u32 v5, vcc_lo, s2, v5
	v_add_co_ci_u32_e32 v6, vcc_lo, s3, v6, vcc_lo
	global_load_b32 v8, v[9:10], off
	global_load_b32 v5, v[5:6], off
	v_mul_lo_u32 v6, v3, s4
	v_mov_b32_e32 v3, 0
	s_delay_alu instid0(VALU_DEP_2) | instskip(NEXT) | instid1(VALU_DEP_2)
	v_add3_u32 v2, v2, v1, v6
	v_mov_b32_e32 v1, v3
	s_delay_alu instid0(VALU_DEP_2) | instskip(NEXT) | instid1(VALU_DEP_2)
	v_lshlrev_b64 v[2:3], 2, v[2:3]
	v_lshlrev_b64 v[0:1], 2, v[0:1]
	s_delay_alu instid0(VALU_DEP_2) | instskip(NEXT) | instid1(VALU_DEP_3)
	v_add_co_u32 v2, vcc_lo, s0, v2
	v_add_co_ci_u32_e32 v3, vcc_lo, s1, v3, vcc_lo
	s_delay_alu instid0(VALU_DEP_2) | instskip(NEXT) | instid1(VALU_DEP_2)
	v_add_co_u32 v0, vcc_lo, v2, v0
	v_add_co_ci_u32_e32 v1, vcc_lo, v3, v1, vcc_lo
	s_waitcnt vmcnt(2)
	v_mul_f32_e32 v4, v4, v7
	s_waitcnt vmcnt(1)
	s_delay_alu instid0(VALU_DEP_1) | instskip(SKIP_1) | instid1(VALU_DEP_1)
	v_mul_f32_e32 v4, v4, v8
	s_waitcnt vmcnt(0)
	v_mul_f32_e32 v4, v4, v5
	global_store_b32 v[0:1], v4, off
.LBB110_5:
	s_nop 0
	s_sendmsg sendmsg(MSG_DEALLOC_VGPRS)
	s_endpgm
	.section	.rodata,"a",@progbits
	.p2align	6, 0x0
	.amdhsa_kernel _ZL19k_bin_bcast_unravelIXadL_ZL6op_mulffEE6__halfffJPKfS2_S2_EEvPKT0_PKT1_PT2_15HIP_vector_typeIjLj3EESC_SC_jSC_SC_SC_SC_SC_SC_iiiiiiiiiiiDpT3_
		.amdhsa_group_segment_fixed_size 0
		.amdhsa_private_segment_fixed_size 0
		.amdhsa_kernarg_size 464
		.amdhsa_user_sgpr_count 15
		.amdhsa_user_sgpr_dispatch_ptr 0
		.amdhsa_user_sgpr_queue_ptr 0
		.amdhsa_user_sgpr_kernarg_segment_ptr 1
		.amdhsa_user_sgpr_dispatch_id 0
		.amdhsa_user_sgpr_private_segment_size 0
		.amdhsa_wavefront_size32 1
		.amdhsa_uses_dynamic_stack 0
		.amdhsa_enable_private_segment 0
		.amdhsa_system_sgpr_workgroup_id_x 1
		.amdhsa_system_sgpr_workgroup_id_y 0
		.amdhsa_system_sgpr_workgroup_id_z 0
		.amdhsa_system_sgpr_workgroup_info 0
		.amdhsa_system_vgpr_workitem_id 0
		.amdhsa_next_free_vgpr 11
		.amdhsa_next_free_sgpr 28
		.amdhsa_reserve_vcc 1
		.amdhsa_float_round_mode_32 0
		.amdhsa_float_round_mode_16_64 0
		.amdhsa_float_denorm_mode_32 3
		.amdhsa_float_denorm_mode_16_64 3
		.amdhsa_dx10_clamp 1
		.amdhsa_ieee_mode 1
		.amdhsa_fp16_overflow 0
		.amdhsa_workgroup_processor_mode 1
		.amdhsa_memory_ordered 1
		.amdhsa_forward_progress 0
		.amdhsa_shared_vgpr_count 0
		.amdhsa_exception_fp_ieee_invalid_op 0
		.amdhsa_exception_fp_denorm_src 0
		.amdhsa_exception_fp_ieee_div_zero 0
		.amdhsa_exception_fp_ieee_overflow 0
		.amdhsa_exception_fp_ieee_underflow 0
		.amdhsa_exception_fp_ieee_inexact 0
		.amdhsa_exception_int_div_zero 0
	.end_amdhsa_kernel
	.section	.text._ZL19k_bin_bcast_unravelIXadL_ZL6op_mulffEE6__halfffJPKfS2_S2_EEvPKT0_PKT1_PT2_15HIP_vector_typeIjLj3EESC_SC_jSC_SC_SC_SC_SC_SC_iiiiiiiiiiiDpT3_,"axG",@progbits,_ZL19k_bin_bcast_unravelIXadL_ZL6op_mulffEE6__halfffJPKfS2_S2_EEvPKT0_PKT1_PT2_15HIP_vector_typeIjLj3EESC_SC_jSC_SC_SC_SC_SC_SC_iiiiiiiiiiiDpT3_,comdat
.Lfunc_end110:
	.size	_ZL19k_bin_bcast_unravelIXadL_ZL6op_mulffEE6__halfffJPKfS2_S2_EEvPKT0_PKT1_PT2_15HIP_vector_typeIjLj3EESC_SC_jSC_SC_SC_SC_SC_SC_iiiiiiiiiiiDpT3_, .Lfunc_end110-_ZL19k_bin_bcast_unravelIXadL_ZL6op_mulffEE6__halfffJPKfS2_S2_EEvPKT0_PKT1_PT2_15HIP_vector_typeIjLj3EESC_SC_jSC_SC_SC_SC_SC_SC_iiiiiiiiiiiDpT3_
                                        ; -- End function
	.section	.AMDGPU.csdata,"",@progbits
; Kernel info:
; codeLenInByte = 884
; NumSgprs: 30
; NumVgprs: 11
; ScratchSize: 0
; MemoryBound: 0
; FloatMode: 240
; IeeeMode: 1
; LDSByteSize: 0 bytes/workgroup (compile time only)
; SGPRBlocks: 3
; VGPRBlocks: 1
; NumSGPRsForWavesPerEU: 30
; NumVGPRsForWavesPerEU: 11
; Occupancy: 16
; WaveLimiterHint : 1
; COMPUTE_PGM_RSRC2:SCRATCH_EN: 0
; COMPUTE_PGM_RSRC2:USER_SGPR: 15
; COMPUTE_PGM_RSRC2:TRAP_HANDLER: 0
; COMPUTE_PGM_RSRC2:TGID_X_EN: 1
; COMPUTE_PGM_RSRC2:TGID_Y_EN: 0
; COMPUTE_PGM_RSRC2:TGID_Z_EN: 0
; COMPUTE_PGM_RSRC2:TIDIG_COMP_CNT: 0
	.section	.text._ZL11k_bin_bcastIXadL_ZL6op_mulffEE6__halfffJPKfS2_S2_EEvPKT0_PKT1_PT2_iii15HIP_vector_typeIjLj3EESC_SC_SC_SC_iiiiiiiiiiiDpT3_,"axG",@progbits,_ZL11k_bin_bcastIXadL_ZL6op_mulffEE6__halfffJPKfS2_S2_EEvPKT0_PKT1_PT2_iii15HIP_vector_typeIjLj3EESC_SC_SC_SC_iiiiiiiiiiiDpT3_,comdat
	.globl	_ZL11k_bin_bcastIXadL_ZL6op_mulffEE6__halfffJPKfS2_S2_EEvPKT0_PKT1_PT2_iii15HIP_vector_typeIjLj3EESC_SC_SC_SC_iiiiiiiiiiiDpT3_ ; -- Begin function _ZL11k_bin_bcastIXadL_ZL6op_mulffEE6__halfffJPKfS2_S2_EEvPKT0_PKT1_PT2_iii15HIP_vector_typeIjLj3EESC_SC_SC_SC_iiiiiiiiiiiDpT3_
	.p2align	8
	.type	_ZL11k_bin_bcastIXadL_ZL6op_mulffEE6__halfffJPKfS2_S2_EEvPKT0_PKT1_PT2_iii15HIP_vector_typeIjLj3EESC_SC_SC_SC_iiiiiiiiiiiDpT3_,@function
_ZL11k_bin_bcastIXadL_ZL6op_mulffEE6__halfffJPKfS2_S2_EEvPKT0_PKT1_PT2_iii15HIP_vector_typeIjLj3EESC_SC_SC_SC_iiiiiiiiiiiDpT3_: ; @_ZL11k_bin_bcastIXadL_ZL6op_mulffEE6__halfffJPKfS2_S2_EEvPKT0_PKT1_PT2_iii15HIP_vector_typeIjLj3EESC_SC_SC_SC_iiiiiiiiiiiDpT3_
; %bb.0:
	s_clause 0x1
	s_load_b64 s[2:3], s[0:1], 0xb4
	s_load_b256 s[16:23], s[0:1], 0x18
	v_bfe_u32 v1, v0, 20, 10
	s_add_u32 s34, s0, 0xa8
	s_addc_u32 s35, s1, 0
	s_waitcnt lgkmcnt(0)
	s_and_b32 s3, s3, 0xffff
	s_and_b32 s12, s2, 0xffff
	v_mad_u64_u32 v[4:5], null, s15, s3, v[1:2]
	v_and_b32_e32 v2, 0x3ff, v0
	v_bfe_u32 v5, v0, 10, 10
	s_lshr_b32 s3, s2, 16
	s_delay_alu instid0(VALU_DEP_3) | instskip(NEXT) | instid1(VALU_DEP_1)
	v_mul_hi_u32 v1, v4, s19
	v_add_nc_u32_e32 v1, v4, v1
	s_delay_alu instid0(VALU_DEP_1) | instskip(NEXT) | instid1(VALU_DEP_1)
	v_lshrrev_b32_e32 v3, s20, v1
	v_mul_lo_u32 v6, v3, s21
	v_mad_u64_u32 v[0:1], null, s13, s12, v[2:3]
	s_delay_alu instid0(VALU_DEP_2) | instskip(SKIP_1) | instid1(VALU_DEP_3)
	v_mad_u64_u32 v[1:2], null, s14, s3, v[5:6]
	v_sub_nc_u32_e32 v4, v4, v6
	v_cmp_gt_u32_e32 vcc_lo, s16, v0
	v_cmp_gt_u32_e64 s3, s18, v3
	s_delay_alu instid0(VALU_DEP_3) | instskip(SKIP_1) | instid1(VALU_DEP_1)
	v_cmp_gt_u32_e64 s4, s21, v4
	v_cmp_gt_u32_e64 s2, s17, v1
	s_and_b32 s2, vcc_lo, s2
	s_delay_alu instid0(VALU_DEP_3) | instid1(SALU_CYCLE_1)
	s_and_b32 s2, s2, s3
	s_delay_alu instid0(VALU_DEP_2) | instid1(SALU_CYCLE_1)
	s_and_b32 s2, s2, s4
	s_delay_alu instid0(SALU_CYCLE_1)
	s_and_saveexec_b32 s3, s2
	s_cbranch_execz .LBB111_6
; %bb.1:
	v_cmp_gt_i32_e32 vcc_lo, s16, v0
	s_and_b32 exec_lo, exec_lo, vcc_lo
	s_cbranch_execz .LBB111_6
; %bb.2:
	s_clause 0x2
	s_load_b256 s[36:43], s[0:1], 0x3c
	s_load_b256 s[4:11], s[0:1], 0x60
	;; [unrolled: 1-line block ×3, first 2 shown]
	s_load_b32 s13, s[34:35], 0x0
	s_clause 0x1
	s_load_b32 s2, s[0:1], 0x5c
	s_load_b64 s[14:15], s[0:1], 0x0
	s_waitcnt lgkmcnt(0)
	v_mul_hi_u32 v2, s36, v1
	v_mul_hi_u32 v5, s39, v3
	;; [unrolled: 1-line block ×3, first 2 shown]
	v_mul_lo_u32 v9, v4, s10
	v_mul_lo_u32 v10, v3, s9
	;; [unrolled: 1-line block ×3, first 2 shown]
	v_mov_b32_e32 v6, 0
	v_mul_lo_u32 v13, v3, s5
	v_add_nc_u32_e32 v2, v1, v2
	v_add_nc_u32_e32 v5, v3, v5
	s_delay_alu instid0(VALU_DEP_4) | instskip(SKIP_1) | instid1(VALU_DEP_4)
	v_dual_mov_b32 v8, v6 :: v_dual_add_nc_u32 v7, v4, v7
	v_mul_lo_u32 v14, v1, s4
	v_lshrrev_b32_e32 v2, s37, v2
	s_delay_alu instid0(VALU_DEP_4) | instskip(NEXT) | instid1(VALU_DEP_4)
	v_lshrrev_b32_e32 v15, s40, v5
	v_lshrrev_b32_e32 v16, s43, v7
	s_clause 0x1
	s_load_b32 s8, s[0:1], 0x38
	s_load_b64 s[4:5], s[0:1], 0x10
	v_add3_u32 v5, v10, v11, v9
	v_mul_lo_u32 v12, v4, s6
	v_mul_lo_u32 v9, v2, s38
	;; [unrolled: 1-line block ×4, first 2 shown]
	v_lshlrev_b64 v[5:6], 1, v[5:6]
	s_load_b64 s[2:3], s[0:1], 0xa0
	s_cmp_lg_u64 s[14:15], 0
	v_mul_lo_u32 v2, s7, v0
	v_add3_u32 v7, v13, v14, v12
	v_sub_nc_u32_e32 v1, v1, v9
	v_sub_nc_u32_e32 v3, v3, v10
	;; [unrolled: 1-line block ×3, first 2 shown]
	v_add_co_u32 v9, vcc_lo, s14, v5
	v_add_co_ci_u32_e32 v5, vcc_lo, s15, v6, vcc_lo
	v_lshlrev_b64 v[7:8], 2, v[7:8]
	s_delay_alu instid0(VALU_DEP_4)
	v_mul_lo_u32 v10, v4, s26
	v_mul_lo_u32 v3, v3, s25
	;; [unrolled: 1-line block ×3, first 2 shown]
	s_cselect_b32 vcc_lo, -1, 0
	v_cndmask_b32_e32 v5, 0, v5, vcc_lo
	v_cndmask_b32_e32 v4, 0, v9, vcc_lo
	s_waitcnt lgkmcnt(0)
	v_add_co_u32 v6, vcc_lo, s4, v7
	v_add_co_ci_u32_e32 v7, vcc_lo, s5, v8, vcc_lo
	s_delay_alu instid0(VALU_DEP_3)
	v_cmp_ne_u64_e32 vcc_lo, 0, v[4:5]
	v_add3_u32 v8, v3, v10, v1
	s_mul_i32 s4, s13, s12
	s_mov_b32 s5, 0
	s_mul_i32 s6, s4, s7
	s_sub_i32 s7, 0, s8
	s_branch .LBB111_4
.LBB111_3:                              ;   in Loop: Header=BB111_4 Depth=1
	s_or_b32 exec_lo, exec_lo, s1
	v_mul_hi_u32 v1, s22, v0
	v_add_nc_u32_e32 v2, s6, v2
	s_delay_alu instid0(VALU_DEP_2) | instskip(NEXT) | instid1(VALU_DEP_1)
	v_add_nc_u32_e32 v1, v0, v1
	v_lshrrev_b32_e32 v1, s23, v1
	s_delay_alu instid0(VALU_DEP_1) | instskip(NEXT) | instid1(VALU_DEP_1)
	v_mad_u64_u32 v[9:10], null, s7, v1, v[0:1]
	v_mul_lo_u32 v1, v9, s11
	s_delay_alu instid0(VALU_DEP_1) | instskip(NEXT) | instid1(VALU_DEP_1)
	v_add_co_u32 v9, s0, v1, v8
	v_add_co_ci_u32_e64 v10, null, 0, 0, s0
	v_ashrrev_i32_e32 v1, 31, v0
	s_delay_alu instid0(VALU_DEP_2) | instskip(NEXT) | instid1(VALU_DEP_1)
	v_lshlrev_b64 v[9:10], 2, v[9:10]
	v_add_co_u32 v11, s0, s28, v9
	s_delay_alu instid0(VALU_DEP_1) | instskip(SKIP_1) | instid1(VALU_DEP_1)
	v_add_co_ci_u32_e64 v12, s0, s29, v10, s0
	v_add_co_u32 v13, s0, s30, v9
	v_add_co_ci_u32_e64 v14, s0, s31, v10, s0
	global_load_b32 v11, v[11:12], off
	v_add_co_u32 v9, s0, s2, v9
	s_delay_alu instid0(VALU_DEP_1) | instskip(SKIP_4) | instid1(VALU_DEP_1)
	v_add_co_ci_u32_e64 v10, s0, s3, v10, s0
	global_load_b32 v12, v[13:14], off
	global_load_b32 v13, v[9:10], off
	v_lshlrev_b64 v[9:10], 2, v[0:1]
	v_add_nc_u32_e32 v0, s4, v0
	v_cmp_le_i32_e64 s0, s16, v0
	s_delay_alu instid0(VALU_DEP_3) | instskip(NEXT) | instid1(VALU_DEP_1)
	v_add_co_u32 v9, s1, v6, v9
	v_add_co_ci_u32_e64 v10, s1, v7, v10, s1
	s_delay_alu instid0(VALU_DEP_3) | instskip(SKIP_3) | instid1(VALU_DEP_1)
	s_or_b32 s5, s0, s5
	s_waitcnt vmcnt(2)
	v_mul_f32_e32 v3, v3, v11
	s_waitcnt vmcnt(1)
	v_mul_f32_e32 v1, v3, v12
	s_waitcnt vmcnt(0)
	s_delay_alu instid0(VALU_DEP_1)
	v_mul_f32_e32 v1, v1, v13
	global_store_b32 v[9:10], v1, off
	s_and_not1_b32 exec_lo, exec_lo, s5
	s_cbranch_execz .LBB111_6
.LBB111_4:                              ; =>This Inner Loop Header: Depth=1
	v_mov_b32_e32 v3, 0
	s_and_saveexec_b32 s1, vcc_lo
	s_cbranch_execz .LBB111_3
; %bb.5:                                ;   in Loop: Header=BB111_4 Depth=1
	v_ashrrev_i32_e32 v3, 31, v2
	s_delay_alu instid0(VALU_DEP_1) | instskip(NEXT) | instid1(VALU_DEP_1)
	v_lshlrev_b64 v[9:10], 1, v[2:3]
	v_add_co_u32 v9, s0, v4, v9
	s_delay_alu instid0(VALU_DEP_1)
	v_add_co_ci_u32_e64 v10, s0, v5, v10, s0
	global_load_u16 v1, v[9:10], off
	s_waitcnt vmcnt(0)
	v_cvt_f32_f16_e32 v3, v1
	s_branch .LBB111_3
.LBB111_6:
	s_nop 0
	s_sendmsg sendmsg(MSG_DEALLOC_VGPRS)
	s_endpgm
	.section	.rodata,"a",@progbits
	.p2align	6, 0x0
	.amdhsa_kernel _ZL11k_bin_bcastIXadL_ZL6op_mulffEE6__halfffJPKfS2_S2_EEvPKT0_PKT1_PT2_iii15HIP_vector_typeIjLj3EESC_SC_SC_SC_iiiiiiiiiiiDpT3_
		.amdhsa_group_segment_fixed_size 0
		.amdhsa_private_segment_fixed_size 0
		.amdhsa_kernarg_size 424
		.amdhsa_user_sgpr_count 13
		.amdhsa_user_sgpr_dispatch_ptr 0
		.amdhsa_user_sgpr_queue_ptr 0
		.amdhsa_user_sgpr_kernarg_segment_ptr 1
		.amdhsa_user_sgpr_dispatch_id 0
		.amdhsa_user_sgpr_private_segment_size 0
		.amdhsa_wavefront_size32 1
		.amdhsa_uses_dynamic_stack 0
		.amdhsa_enable_private_segment 0
		.amdhsa_system_sgpr_workgroup_id_x 1
		.amdhsa_system_sgpr_workgroup_id_y 1
		.amdhsa_system_sgpr_workgroup_id_z 1
		.amdhsa_system_sgpr_workgroup_info 0
		.amdhsa_system_vgpr_workitem_id 2
		.amdhsa_next_free_vgpr 17
		.amdhsa_next_free_sgpr 44
		.amdhsa_reserve_vcc 1
		.amdhsa_float_round_mode_32 0
		.amdhsa_float_round_mode_16_64 0
		.amdhsa_float_denorm_mode_32 3
		.amdhsa_float_denorm_mode_16_64 3
		.amdhsa_dx10_clamp 1
		.amdhsa_ieee_mode 1
		.amdhsa_fp16_overflow 0
		.amdhsa_workgroup_processor_mode 1
		.amdhsa_memory_ordered 1
		.amdhsa_forward_progress 0
		.amdhsa_shared_vgpr_count 0
		.amdhsa_exception_fp_ieee_invalid_op 0
		.amdhsa_exception_fp_denorm_src 0
		.amdhsa_exception_fp_ieee_div_zero 0
		.amdhsa_exception_fp_ieee_overflow 0
		.amdhsa_exception_fp_ieee_underflow 0
		.amdhsa_exception_fp_ieee_inexact 0
		.amdhsa_exception_int_div_zero 0
	.end_amdhsa_kernel
	.section	.text._ZL11k_bin_bcastIXadL_ZL6op_mulffEE6__halfffJPKfS2_S2_EEvPKT0_PKT1_PT2_iii15HIP_vector_typeIjLj3EESC_SC_SC_SC_iiiiiiiiiiiDpT3_,"axG",@progbits,_ZL11k_bin_bcastIXadL_ZL6op_mulffEE6__halfffJPKfS2_S2_EEvPKT0_PKT1_PT2_iii15HIP_vector_typeIjLj3EESC_SC_SC_SC_iiiiiiiiiiiDpT3_,comdat
.Lfunc_end111:
	.size	_ZL11k_bin_bcastIXadL_ZL6op_mulffEE6__halfffJPKfS2_S2_EEvPKT0_PKT1_PT2_iii15HIP_vector_typeIjLj3EESC_SC_SC_SC_iiiiiiiiiiiDpT3_, .Lfunc_end111-_ZL11k_bin_bcastIXadL_ZL6op_mulffEE6__halfffJPKfS2_S2_EEvPKT0_PKT1_PT2_iii15HIP_vector_typeIjLj3EESC_SC_SC_SC_iiiiiiiiiiiDpT3_
                                        ; -- End function
	.section	.AMDGPU.csdata,"",@progbits
; Kernel info:
; codeLenInByte = 940
; NumSgprs: 46
; NumVgprs: 17
; ScratchSize: 0
; MemoryBound: 0
; FloatMode: 240
; IeeeMode: 1
; LDSByteSize: 0 bytes/workgroup (compile time only)
; SGPRBlocks: 5
; VGPRBlocks: 2
; NumSGPRsForWavesPerEU: 46
; NumVGPRsForWavesPerEU: 17
; Occupancy: 16
; WaveLimiterHint : 1
; COMPUTE_PGM_RSRC2:SCRATCH_EN: 0
; COMPUTE_PGM_RSRC2:USER_SGPR: 13
; COMPUTE_PGM_RSRC2:TRAP_HANDLER: 0
; COMPUTE_PGM_RSRC2:TGID_X_EN: 1
; COMPUTE_PGM_RSRC2:TGID_Y_EN: 1
; COMPUTE_PGM_RSRC2:TGID_Z_EN: 1
; COMPUTE_PGM_RSRC2:TIDIG_COMP_CNT: 2
	.section	.text._ZL19k_bin_bcast_unravelIXadL_ZL6op_mulffEEfffJPKfS1_S1_S1_EEvPKT0_PKT1_PT2_15HIP_vector_typeIjLj3EESB_SB_jSB_SB_SB_SB_SB_SB_iiiiiiiiiiiDpT3_,"axG",@progbits,_ZL19k_bin_bcast_unravelIXadL_ZL6op_mulffEEfffJPKfS1_S1_S1_EEvPKT0_PKT1_PT2_15HIP_vector_typeIjLj3EESB_SB_jSB_SB_SB_SB_SB_SB_iiiiiiiiiiiDpT3_,comdat
	.globl	_ZL19k_bin_bcast_unravelIXadL_ZL6op_mulffEEfffJPKfS1_S1_S1_EEvPKT0_PKT1_PT2_15HIP_vector_typeIjLj3EESB_SB_jSB_SB_SB_SB_SB_SB_iiiiiiiiiiiDpT3_ ; -- Begin function _ZL19k_bin_bcast_unravelIXadL_ZL6op_mulffEEfffJPKfS1_S1_S1_EEvPKT0_PKT1_PT2_15HIP_vector_typeIjLj3EESB_SB_jSB_SB_SB_SB_SB_SB_iiiiiiiiiiiDpT3_
	.p2align	8
	.type	_ZL19k_bin_bcast_unravelIXadL_ZL6op_mulffEEfffJPKfS1_S1_S1_EEvPKT0_PKT1_PT2_15HIP_vector_typeIjLj3EESB_SB_jSB_SB_SB_SB_SB_SB_iiiiiiiiiiiDpT3_,@function
_ZL19k_bin_bcast_unravelIXadL_ZL6op_mulffEEfffJPKfS1_S1_S1_EEvPKT0_PKT1_PT2_15HIP_vector_typeIjLj3EESB_SB_jSB_SB_SB_SB_SB_SB_iiiiiiiiiiiDpT3_: ; @_ZL19k_bin_bcast_unravelIXadL_ZL6op_mulffEEfffJPKfS1_S1_S1_EEvPKT0_PKT1_PT2_15HIP_vector_typeIjLj3EESB_SB_jSB_SB_SB_SB_SB_SB_iiiiiiiiiiiDpT3_
; %bb.0:
	s_clause 0x1
	s_load_b32 s2, s[0:1], 0xe4
	s_load_b256 s[4:11], s[0:1], 0x38
	s_waitcnt lgkmcnt(0)
	s_and_b32 s2, s2, 0xffff
	s_delay_alu instid0(SALU_CYCLE_1) | instskip(SKIP_3) | instid1(VALU_DEP_1)
	v_mad_u64_u32 v[2:3], null, s15, s2, v[0:1]
	s_clause 0x1
	s_load_b128 s[12:15], s[0:1], 0x18
	s_load_b32 s2, s[0:1], 0x2c
	v_mul_hi_u32 v0, v2, s6
	s_delay_alu instid0(VALU_DEP_1) | instskip(NEXT) | instid1(VALU_DEP_1)
	v_add_nc_u32_e32 v0, v2, v0
	v_lshrrev_b32_e32 v1, s7, v0
	s_delay_alu instid0(VALU_DEP_1) | instskip(NEXT) | instid1(VALU_DEP_1)
	v_mul_lo_u32 v0, v1, s8
	v_sub_nc_u32_e32 v0, v2, v0
	s_delay_alu instid0(VALU_DEP_1) | instskip(NEXT) | instid1(VALU_DEP_1)
	v_mul_hi_u32 v2, v0, s9
	v_add_nc_u32_e32 v2, v0, v2
	s_delay_alu instid0(VALU_DEP_1) | instskip(NEXT) | instid1(VALU_DEP_1)
	v_lshrrev_b32_e32 v2, s10, v2
	v_mul_lo_u32 v3, v2, s11
	v_cmp_gt_u32_e64 s3, s4, v2
	v_cmp_gt_u32_e64 s4, s5, v1
	s_delay_alu instid0(VALU_DEP_3) | instskip(SKIP_1) | instid1(VALU_DEP_1)
	v_sub_nc_u32_e32 v0, v0, v3
	s_waitcnt lgkmcnt(0)
	v_mul_hi_u32 v3, v0, s12
	s_delay_alu instid0(VALU_DEP_1) | instskip(NEXT) | instid1(VALU_DEP_1)
	v_add_nc_u32_e32 v3, v0, v3
	v_lshrrev_b32_e32 v3, s13, v3
	s_delay_alu instid0(VALU_DEP_1) | instskip(SKIP_1) | instid1(VALU_DEP_2)
	v_mul_lo_u32 v4, v3, s14
	v_cmp_gt_u32_e64 s2, s2, v3
	v_sub_nc_u32_e32 v0, v0, v4
	s_delay_alu instid0(VALU_DEP_1) | instskip(NEXT) | instid1(VALU_DEP_3)
	v_cmp_gt_u32_e32 vcc_lo, s14, v0
	s_and_b32 s2, vcc_lo, s2
	s_delay_alu instid0(SALU_CYCLE_1) | instskip(NEXT) | instid1(SALU_CYCLE_1)
	s_and_b32 s2, s2, s3
	s_and_b32 s2, s4, s2
	s_delay_alu instid0(SALU_CYCLE_1)
	s_and_saveexec_b32 s3, s2
	s_cbranch_execz .LBB112_5
; %bb.1:
	s_clause 0x4
	s_load_b64 s[2:3], s[0:1], 0x0
	s_load_b128 s[20:23], s[0:1], 0xa8
	s_load_b256 s[4:11], s[0:1], 0x88
	s_load_b128 s[24:27], s[0:1], 0x78
	s_load_b256 s[12:19], s[0:1], 0x58
	s_waitcnt lgkmcnt(0)
	s_cmp_eq_u64 s[2:3], 0
	s_cbranch_scc1 .LBB112_3
; %bb.2:
	v_mul_lo_u32 v4, v1, s10
	v_mul_lo_u32 v6, v2, s9
	;; [unrolled: 1-line block ×3, first 2 shown]
	v_mov_b32_e32 v5, 0
	s_delay_alu instid0(VALU_DEP_2) | instskip(NEXT) | instid1(VALU_DEP_1)
	v_add3_u32 v4, v6, v4, v7
	v_lshlrev_b64 v[6:7], 2, v[4:5]
	v_mul_lo_u32 v4, v0, s7
	s_delay_alu instid0(VALU_DEP_2) | instskip(NEXT) | instid1(VALU_DEP_3)
	v_add_co_u32 v6, vcc_lo, s2, v6
	v_add_co_ci_u32_e32 v7, vcc_lo, s3, v7, vcc_lo
	s_delay_alu instid0(VALU_DEP_3) | instskip(NEXT) | instid1(VALU_DEP_1)
	v_lshlrev_b64 v[4:5], 2, v[4:5]
	v_add_co_u32 v4, vcc_lo, v6, v4
	s_delay_alu instid0(VALU_DEP_2)
	v_add_co_ci_u32_e32 v5, vcc_lo, v7, v5, vcc_lo
	global_load_b32 v4, v[4:5], off
	s_branch .LBB112_4
.LBB112_3:
	v_mov_b32_e32 v4, 0
.LBB112_4:
	v_mul_hi_u32 v5, s25, v1
	v_mul_hi_u32 v6, s18, v2
	;; [unrolled: 1-line block ×4, first 2 shown]
	s_delay_alu instid0(VALU_DEP_4) | instskip(NEXT) | instid1(VALU_DEP_4)
	v_add_nc_u32_e32 v5, v1, v5
	v_add_nc_u32_e32 v6, v2, v6
	s_delay_alu instid0(VALU_DEP_4) | instskip(NEXT) | instid1(VALU_DEP_4)
	v_add_nc_u32_e32 v7, v3, v7
	v_add_nc_u32_e32 v8, v0, v8
	s_delay_alu instid0(VALU_DEP_4) | instskip(NEXT) | instid1(VALU_DEP_4)
	v_lshrrev_b32_e32 v5, s26, v5
	v_lshrrev_b32_e32 v6, s19, v6
	s_delay_alu instid0(VALU_DEP_4) | instskip(NEXT) | instid1(VALU_DEP_4)
	v_lshrrev_b32_e32 v7, s16, v7
	v_lshrrev_b32_e32 v8, s13, v8
	s_delay_alu instid0(VALU_DEP_4) | instskip(NEXT) | instid1(VALU_DEP_4)
	v_mul_lo_u32 v5, v5, s27
	v_mul_lo_u32 v6, v6, s24
	s_delay_alu instid0(VALU_DEP_4) | instskip(NEXT) | instid1(VALU_DEP_4)
	v_mul_lo_u32 v7, v7, s17
	v_mul_lo_u32 v8, v8, s14
	s_delay_alu instid0(VALU_DEP_4) | instskip(NEXT) | instid1(VALU_DEP_4)
	v_sub_nc_u32_e32 v5, v1, v5
	v_sub_nc_u32_e32 v6, v2, v6
	s_delay_alu instid0(VALU_DEP_4) | instskip(NEXT) | instid1(VALU_DEP_4)
	v_sub_nc_u32_e32 v7, v3, v7
	v_sub_nc_u32_e32 v8, v0, v8
	v_mul_lo_u32 v1, v1, s6
	v_mul_lo_u32 v5, v5, s22
	;; [unrolled: 1-line block ×5, first 2 shown]
	s_clause 0x1
	s_load_b256 s[8:15], s[0:1], 0xb8
	s_load_b64 s[0:1], s[0:1], 0x10
	v_mul_lo_u32 v2, v2, s5
	s_delay_alu instid0(VALU_DEP_3) | instskip(NEXT) | instid1(VALU_DEP_3)
	v_add3_u32 v5, v6, v5, v7
	v_ashrrev_i32_e32 v6, 31, v8
	s_delay_alu instid0(VALU_DEP_2) | instskip(SKIP_1) | instid1(VALU_DEP_2)
	v_ashrrev_i32_e32 v7, 31, v5
	v_add_co_u32 v5, vcc_lo, v8, v5
	v_add_co_ci_u32_e32 v6, vcc_lo, v6, v7, vcc_lo
	s_delay_alu instid0(VALU_DEP_1) | instskip(SKIP_1) | instid1(VALU_DEP_1)
	v_lshlrev_b64 v[5:6], 2, v[5:6]
	s_waitcnt lgkmcnt(0)
	v_add_co_u32 v7, vcc_lo, s8, v5
	s_delay_alu instid0(VALU_DEP_2)
	v_add_co_ci_u32_e32 v8, vcc_lo, s9, v6, vcc_lo
	v_add_co_u32 v9, vcc_lo, s10, v5
	v_add_co_ci_u32_e32 v10, vcc_lo, s11, v6, vcc_lo
	global_load_b32 v11, v[7:8], off
	v_add_co_u32 v7, vcc_lo, s12, v5
	v_add_co_ci_u32_e32 v8, vcc_lo, s13, v6, vcc_lo
	global_load_b32 v9, v[9:10], off
	;; [unrolled: 3-line block ×3, first 2 shown]
	global_load_b32 v5, v[5:6], off
	v_mul_lo_u32 v6, v3, s4
	v_mov_b32_e32 v3, 0
	s_delay_alu instid0(VALU_DEP_2) | instskip(NEXT) | instid1(VALU_DEP_2)
	v_add3_u32 v2, v2, v1, v6
	v_mov_b32_e32 v1, v3
	s_delay_alu instid0(VALU_DEP_2) | instskip(NEXT) | instid1(VALU_DEP_2)
	v_lshlrev_b64 v[2:3], 2, v[2:3]
	v_lshlrev_b64 v[0:1], 2, v[0:1]
	s_delay_alu instid0(VALU_DEP_2) | instskip(NEXT) | instid1(VALU_DEP_3)
	v_add_co_u32 v2, vcc_lo, s0, v2
	v_add_co_ci_u32_e32 v3, vcc_lo, s1, v3, vcc_lo
	s_delay_alu instid0(VALU_DEP_2) | instskip(NEXT) | instid1(VALU_DEP_2)
	v_add_co_u32 v0, vcc_lo, v2, v0
	v_add_co_ci_u32_e32 v1, vcc_lo, v3, v1, vcc_lo
	s_waitcnt vmcnt(3)
	v_mul_f32_e32 v4, v4, v11
	s_waitcnt vmcnt(2)
	s_delay_alu instid0(VALU_DEP_1) | instskip(SKIP_1) | instid1(VALU_DEP_1)
	v_mul_f32_e32 v4, v4, v9
	s_waitcnt vmcnt(1)
	v_mul_f32_e32 v4, v4, v7
	s_waitcnt vmcnt(0)
	s_delay_alu instid0(VALU_DEP_1)
	v_mul_f32_e32 v4, v4, v5
	global_store_b32 v[0:1], v4, off
.LBB112_5:
	s_nop 0
	s_sendmsg sendmsg(MSG_DEALLOC_VGPRS)
	s_endpgm
	.section	.rodata,"a",@progbits
	.p2align	6, 0x0
	.amdhsa_kernel _ZL19k_bin_bcast_unravelIXadL_ZL6op_mulffEEfffJPKfS1_S1_S1_EEvPKT0_PKT1_PT2_15HIP_vector_typeIjLj3EESB_SB_jSB_SB_SB_SB_SB_SB_iiiiiiiiiiiDpT3_
		.amdhsa_group_segment_fixed_size 0
		.amdhsa_private_segment_fixed_size 0
		.amdhsa_kernarg_size 472
		.amdhsa_user_sgpr_count 15
		.amdhsa_user_sgpr_dispatch_ptr 0
		.amdhsa_user_sgpr_queue_ptr 0
		.amdhsa_user_sgpr_kernarg_segment_ptr 1
		.amdhsa_user_sgpr_dispatch_id 0
		.amdhsa_user_sgpr_private_segment_size 0
		.amdhsa_wavefront_size32 1
		.amdhsa_uses_dynamic_stack 0
		.amdhsa_enable_private_segment 0
		.amdhsa_system_sgpr_workgroup_id_x 1
		.amdhsa_system_sgpr_workgroup_id_y 0
		.amdhsa_system_sgpr_workgroup_id_z 0
		.amdhsa_system_sgpr_workgroup_info 0
		.amdhsa_system_vgpr_workitem_id 0
		.amdhsa_next_free_vgpr 12
		.amdhsa_next_free_sgpr 28
		.amdhsa_reserve_vcc 1
		.amdhsa_float_round_mode_32 0
		.amdhsa_float_round_mode_16_64 0
		.amdhsa_float_denorm_mode_32 3
		.amdhsa_float_denorm_mode_16_64 3
		.amdhsa_dx10_clamp 1
		.amdhsa_ieee_mode 1
		.amdhsa_fp16_overflow 0
		.amdhsa_workgroup_processor_mode 1
		.amdhsa_memory_ordered 1
		.amdhsa_forward_progress 0
		.amdhsa_shared_vgpr_count 0
		.amdhsa_exception_fp_ieee_invalid_op 0
		.amdhsa_exception_fp_denorm_src 0
		.amdhsa_exception_fp_ieee_div_zero 0
		.amdhsa_exception_fp_ieee_overflow 0
		.amdhsa_exception_fp_ieee_underflow 0
		.amdhsa_exception_fp_ieee_inexact 0
		.amdhsa_exception_int_div_zero 0
	.end_amdhsa_kernel
	.section	.text._ZL19k_bin_bcast_unravelIXadL_ZL6op_mulffEEfffJPKfS1_S1_S1_EEvPKT0_PKT1_PT2_15HIP_vector_typeIjLj3EESB_SB_jSB_SB_SB_SB_SB_SB_iiiiiiiiiiiDpT3_,"axG",@progbits,_ZL19k_bin_bcast_unravelIXadL_ZL6op_mulffEEfffJPKfS1_S1_S1_EEvPKT0_PKT1_PT2_15HIP_vector_typeIjLj3EESB_SB_jSB_SB_SB_SB_SB_SB_iiiiiiiiiiiDpT3_,comdat
.Lfunc_end112:
	.size	_ZL19k_bin_bcast_unravelIXadL_ZL6op_mulffEEfffJPKfS1_S1_S1_EEvPKT0_PKT1_PT2_15HIP_vector_typeIjLj3EESB_SB_jSB_SB_SB_SB_SB_SB_iiiiiiiiiiiDpT3_, .Lfunc_end112-_ZL19k_bin_bcast_unravelIXadL_ZL6op_mulffEEfffJPKfS1_S1_S1_EEvPKT0_PKT1_PT2_15HIP_vector_typeIjLj3EESB_SB_jSB_SB_SB_SB_SB_SB_iiiiiiiiiiiDpT3_
                                        ; -- End function
	.section	.AMDGPU.csdata,"",@progbits
; Kernel info:
; codeLenInByte = 900
; NumSgprs: 30
; NumVgprs: 12
; ScratchSize: 0
; MemoryBound: 0
; FloatMode: 240
; IeeeMode: 1
; LDSByteSize: 0 bytes/workgroup (compile time only)
; SGPRBlocks: 3
; VGPRBlocks: 1
; NumSGPRsForWavesPerEU: 30
; NumVGPRsForWavesPerEU: 12
; Occupancy: 16
; WaveLimiterHint : 1
; COMPUTE_PGM_RSRC2:SCRATCH_EN: 0
; COMPUTE_PGM_RSRC2:USER_SGPR: 15
; COMPUTE_PGM_RSRC2:TRAP_HANDLER: 0
; COMPUTE_PGM_RSRC2:TGID_X_EN: 1
; COMPUTE_PGM_RSRC2:TGID_Y_EN: 0
; COMPUTE_PGM_RSRC2:TGID_Z_EN: 0
; COMPUTE_PGM_RSRC2:TIDIG_COMP_CNT: 0
	.section	.text._ZL11k_bin_bcastIXadL_ZL6op_mulffEEfffJPKfS1_S1_S1_EEvPKT0_PKT1_PT2_iii15HIP_vector_typeIjLj3EESB_SB_SB_SB_iiiiiiiiiiiDpT3_,"axG",@progbits,_ZL11k_bin_bcastIXadL_ZL6op_mulffEEfffJPKfS1_S1_S1_EEvPKT0_PKT1_PT2_iii15HIP_vector_typeIjLj3EESB_SB_SB_SB_iiiiiiiiiiiDpT3_,comdat
	.globl	_ZL11k_bin_bcastIXadL_ZL6op_mulffEEfffJPKfS1_S1_S1_EEvPKT0_PKT1_PT2_iii15HIP_vector_typeIjLj3EESB_SB_SB_SB_iiiiiiiiiiiDpT3_ ; -- Begin function _ZL11k_bin_bcastIXadL_ZL6op_mulffEEfffJPKfS1_S1_S1_EEvPKT0_PKT1_PT2_iii15HIP_vector_typeIjLj3EESB_SB_SB_SB_iiiiiiiiiiiDpT3_
	.p2align	8
	.type	_ZL11k_bin_bcastIXadL_ZL6op_mulffEEfffJPKfS1_S1_S1_EEvPKT0_PKT1_PT2_iii15HIP_vector_typeIjLj3EESB_SB_SB_SB_iiiiiiiiiiiDpT3_,@function
_ZL11k_bin_bcastIXadL_ZL6op_mulffEEfffJPKfS1_S1_S1_EEvPKT0_PKT1_PT2_iii15HIP_vector_typeIjLj3EESB_SB_SB_SB_iiiiiiiiiiiDpT3_: ; @_ZL11k_bin_bcastIXadL_ZL6op_mulffEEfffJPKfS1_S1_S1_EEvPKT0_PKT1_PT2_iii15HIP_vector_typeIjLj3EESB_SB_SB_SB_iiiiiiiiiiiDpT3_
; %bb.0:
	s_clause 0x1
	s_load_b64 s[2:3], s[0:1], 0xbc
	s_load_b256 s[16:23], s[0:1], 0x18
	v_bfe_u32 v1, v0, 20, 10
	s_add_u32 s34, s0, 0xb0
	s_addc_u32 s35, s1, 0
	s_waitcnt lgkmcnt(0)
	s_and_b32 s3, s3, 0xffff
	s_delay_alu instid0(SALU_CYCLE_1) | instskip(SKIP_3) | instid1(VALU_DEP_3)
	v_mad_u64_u32 v[4:5], null, s15, s3, v[1:2]
	v_and_b32_e32 v2, 0x3ff, v0
	v_bfe_u32 v5, v0, 10, 10
	s_lshr_b32 s3, s2, 16
	v_mul_hi_u32 v1, v4, s19
	s_and_b32 s19, s2, 0xffff
	s_delay_alu instid0(VALU_DEP_1) | instskip(NEXT) | instid1(VALU_DEP_1)
	v_add_nc_u32_e32 v1, v4, v1
	v_lshrrev_b32_e32 v3, s20, v1
	s_delay_alu instid0(VALU_DEP_1) | instskip(SKIP_1) | instid1(VALU_DEP_2)
	v_mul_lo_u32 v6, v3, s21
	v_mad_u64_u32 v[0:1], null, s13, s19, v[2:3]
	v_mad_u64_u32 v[1:2], null, s14, s3, v[5:6]
	v_sub_nc_u32_e32 v4, v4, v6
	s_delay_alu instid0(VALU_DEP_3) | instskip(SKIP_1) | instid1(VALU_DEP_3)
	v_cmp_gt_u32_e32 vcc_lo, s16, v0
	v_cmp_gt_u32_e64 s3, s18, v3
	v_cmp_gt_u32_e64 s4, s21, v4
	;; [unrolled: 1-line block ×3, first 2 shown]
	s_delay_alu instid0(VALU_DEP_1)
	s_and_b32 s2, vcc_lo, s2
	s_delay_alu instid0(VALU_DEP_3) | instid1(SALU_CYCLE_1)
	s_and_b32 s2, s2, s3
	s_delay_alu instid0(VALU_DEP_2) | instid1(SALU_CYCLE_1)
	s_and_b32 s2, s2, s4
	s_delay_alu instid0(SALU_CYCLE_1)
	s_and_saveexec_b32 s3, s2
	s_cbranch_execz .LBB113_6
; %bb.1:
	v_cmp_gt_i32_e32 vcc_lo, s16, v0
	s_and_b32 exec_lo, exec_lo, vcc_lo
	s_cbranch_execz .LBB113_6
; %bb.2:
	s_clause 0x2
	s_load_b256 s[24:31], s[0:1], 0x3c
	s_load_b256 s[4:11], s[0:1], 0x60
	s_load_b128 s[12:15], s[0:1], 0x80
	s_waitcnt lgkmcnt(0)
	s_load_b32 s15, s[34:35], 0x0
	s_clause 0x1
	s_load_b32 s17, s[0:1], 0x5c
	s_load_b64 s[2:3], s[0:1], 0x0
	v_mul_hi_u32 v2, s24, v1
	v_mul_hi_u32 v5, s27, v3
	;; [unrolled: 1-line block ×3, first 2 shown]
	v_mul_lo_u32 v9, v4, s10
	v_mul_lo_u32 v10, v3, s9
	;; [unrolled: 1-line block ×3, first 2 shown]
	v_mov_b32_e32 v6, 0
	v_mul_lo_u32 v12, v4, s6
	v_add_nc_u32_e32 v2, v1, v2
	v_add_nc_u32_e32 v5, v3, v5
	s_delay_alu instid0(VALU_DEP_4) | instskip(SKIP_1) | instid1(VALU_DEP_4)
	v_dual_mov_b32 v8, v6 :: v_dual_add_nc_u32 v7, v4, v7
	v_mul_lo_u32 v13, v3, s5
	v_lshrrev_b32_e32 v2, s25, v2
	s_delay_alu instid0(VALU_DEP_4) | instskip(NEXT) | instid1(VALU_DEP_4)
	v_lshrrev_b32_e32 v15, s28, v5
	v_lshrrev_b32_e32 v16, s31, v7
	v_mul_lo_u32 v14, v1, s4
	s_clause 0x1
	s_load_b32 s6, s[0:1], 0x38
	s_load_b64 s[4:5], s[0:1], 0x10
	v_add3_u32 v5, v10, v11, v9
	v_mul_lo_u32 v9, v2, s26
	v_mul_lo_u32 v10, v15, s29
	s_waitcnt lgkmcnt(0)
	v_mul_lo_u32 v11, v16, s17
	s_load_b256 s[24:31], s[0:1], 0x90
	v_lshlrev_b64 v[5:6], 2, v[5:6]
	v_add3_u32 v7, v13, v14, v12
	s_cmp_lg_u64 s[2:3], 0
	v_mul_lo_u32 v2, s7, v0
	v_sub_nc_u32_e32 v1, v1, v9
	v_sub_nc_u32_e32 v3, v3, v10
	;; [unrolled: 1-line block ×3, first 2 shown]
	v_add_co_u32 v9, vcc_lo, s2, v5
	v_add_co_ci_u32_e32 v5, vcc_lo, s3, v6, vcc_lo
	v_lshlrev_b64 v[7:8], 2, v[7:8]
	s_delay_alu instid0(VALU_DEP_4)
	v_mul_lo_u32 v10, v4, s14
	v_mul_lo_u32 v3, v3, s13
	;; [unrolled: 1-line block ×3, first 2 shown]
	s_cselect_b32 vcc_lo, -1, 0
	s_mul_i32 s2, s15, s19
	v_cndmask_b32_e32 v5, 0, v5, vcc_lo
	v_cndmask_b32_e32 v4, 0, v9, vcc_lo
	v_add_co_u32 v6, vcc_lo, s4, v7
	v_add_co_ci_u32_e32 v7, vcc_lo, s5, v8, vcc_lo
	s_delay_alu instid0(VALU_DEP_3)
	v_cmp_ne_u64_e32 vcc_lo, 0, v[4:5]
	v_add3_u32 v8, v3, v10, v1
	s_mov_b32 s3, 0
	s_mul_i32 s4, s2, s7
	s_sub_i32 s5, 0, s6
	s_branch .LBB113_4
.LBB113_3:                              ;   in Loop: Header=BB113_4 Depth=1
	s_or_b32 exec_lo, exec_lo, s1
	v_mul_hi_u32 v3, s22, v0
	v_add_nc_u32_e32 v2, s4, v2
	s_delay_alu instid0(VALU_DEP_2) | instskip(NEXT) | instid1(VALU_DEP_1)
	v_add_nc_u32_e32 v3, v0, v3
	v_lshrrev_b32_e32 v3, s23, v3
	s_waitcnt vmcnt(0)
	s_delay_alu instid0(VALU_DEP_1) | instskip(NEXT) | instid1(VALU_DEP_1)
	v_mad_u64_u32 v[9:10], null, s5, v3, v[0:1]
	v_mul_lo_u32 v3, v9, s11
	s_delay_alu instid0(VALU_DEP_1) | instskip(NEXT) | instid1(VALU_DEP_1)
	v_add_co_u32 v9, s0, v3, v8
	v_add_co_ci_u32_e64 v10, null, 0, 0, s0
	s_delay_alu instid0(VALU_DEP_1) | instskip(SKIP_1) | instid1(VALU_DEP_1)
	v_lshlrev_b64 v[9:10], 2, v[9:10]
	s_waitcnt lgkmcnt(0)
	v_add_co_u32 v11, s0, s24, v9
	s_delay_alu instid0(VALU_DEP_1) | instskip(SKIP_1) | instid1(VALU_DEP_1)
	v_add_co_ci_u32_e64 v12, s0, s25, v10, s0
	v_add_co_u32 v13, s0, s26, v9
	v_add_co_ci_u32_e64 v14, s0, s27, v10, s0
	global_load_b32 v3, v[11:12], off
	v_add_co_u32 v11, s0, s28, v9
	s_delay_alu instid0(VALU_DEP_1) | instskip(SKIP_2) | instid1(VALU_DEP_1)
	v_add_co_ci_u32_e64 v12, s0, s29, v10, s0
	global_load_b32 v13, v[13:14], off
	v_add_co_u32 v9, s0, s30, v9
	v_add_co_ci_u32_e64 v10, s0, s31, v10, s0
	global_load_b32 v11, v[11:12], off
	global_load_b32 v12, v[9:10], off
	s_waitcnt vmcnt(3)
	v_mul_f32_e32 v3, v1, v3
	v_ashrrev_i32_e32 v1, 31, v0
	s_delay_alu instid0(VALU_DEP_1) | instskip(SKIP_1) | instid1(VALU_DEP_3)
	v_lshlrev_b64 v[9:10], 2, v[0:1]
	s_waitcnt vmcnt(2)
	v_dual_mul_f32 v3, v3, v13 :: v_dual_add_nc_u32 v0, s2, v0
	s_delay_alu instid0(VALU_DEP_1) | instskip(SKIP_1) | instid1(VALU_DEP_2)
	v_cmp_le_i32_e64 s0, s16, v0
	s_waitcnt vmcnt(1)
	v_mul_f32_e32 v1, v3, v11
	v_add_co_u32 v9, s1, v6, v9
	s_delay_alu instid0(VALU_DEP_1) | instskip(SKIP_1) | instid1(VALU_DEP_3)
	v_add_co_ci_u32_e64 v10, s1, v7, v10, s1
	s_waitcnt vmcnt(0)
	v_mul_f32_e32 v1, v1, v12
	s_or_b32 s3, s0, s3
	global_store_b32 v[9:10], v1, off
	s_and_not1_b32 exec_lo, exec_lo, s3
	s_cbranch_execz .LBB113_6
.LBB113_4:                              ; =>This Inner Loop Header: Depth=1
	v_mov_b32_e32 v1, 0
	s_and_saveexec_b32 s1, vcc_lo
	s_cbranch_execz .LBB113_3
; %bb.5:                                ;   in Loop: Header=BB113_4 Depth=1
	v_ashrrev_i32_e32 v3, 31, v2
	s_delay_alu instid0(VALU_DEP_1) | instskip(NEXT) | instid1(VALU_DEP_1)
	v_lshlrev_b64 v[9:10], 2, v[2:3]
	v_add_co_u32 v9, s0, v4, v9
	s_delay_alu instid0(VALU_DEP_1)
	v_add_co_ci_u32_e64 v10, s0, v5, v10, s0
	global_load_b32 v1, v[9:10], off
	s_branch .LBB113_3
.LBB113_6:
	s_nop 0
	s_sendmsg sendmsg(MSG_DEALLOC_VGPRS)
	s_endpgm
	.section	.rodata,"a",@progbits
	.p2align	6, 0x0
	.amdhsa_kernel _ZL11k_bin_bcastIXadL_ZL6op_mulffEEfffJPKfS1_S1_S1_EEvPKT0_PKT1_PT2_iii15HIP_vector_typeIjLj3EESB_SB_SB_SB_iiiiiiiiiiiDpT3_
		.amdhsa_group_segment_fixed_size 0
		.amdhsa_private_segment_fixed_size 0
		.amdhsa_kernarg_size 432
		.amdhsa_user_sgpr_count 13
		.amdhsa_user_sgpr_dispatch_ptr 0
		.amdhsa_user_sgpr_queue_ptr 0
		.amdhsa_user_sgpr_kernarg_segment_ptr 1
		.amdhsa_user_sgpr_dispatch_id 0
		.amdhsa_user_sgpr_private_segment_size 0
		.amdhsa_wavefront_size32 1
		.amdhsa_uses_dynamic_stack 0
		.amdhsa_enable_private_segment 0
		.amdhsa_system_sgpr_workgroup_id_x 1
		.amdhsa_system_sgpr_workgroup_id_y 1
		.amdhsa_system_sgpr_workgroup_id_z 1
		.amdhsa_system_sgpr_workgroup_info 0
		.amdhsa_system_vgpr_workitem_id 2
		.amdhsa_next_free_vgpr 17
		.amdhsa_next_free_sgpr 36
		.amdhsa_reserve_vcc 1
		.amdhsa_float_round_mode_32 0
		.amdhsa_float_round_mode_16_64 0
		.amdhsa_float_denorm_mode_32 3
		.amdhsa_float_denorm_mode_16_64 3
		.amdhsa_dx10_clamp 1
		.amdhsa_ieee_mode 1
		.amdhsa_fp16_overflow 0
		.amdhsa_workgroup_processor_mode 1
		.amdhsa_memory_ordered 1
		.amdhsa_forward_progress 0
		.amdhsa_shared_vgpr_count 0
		.amdhsa_exception_fp_ieee_invalid_op 0
		.amdhsa_exception_fp_denorm_src 0
		.amdhsa_exception_fp_ieee_div_zero 0
		.amdhsa_exception_fp_ieee_overflow 0
		.amdhsa_exception_fp_ieee_underflow 0
		.amdhsa_exception_fp_ieee_inexact 0
		.amdhsa_exception_int_div_zero 0
	.end_amdhsa_kernel
	.section	.text._ZL11k_bin_bcastIXadL_ZL6op_mulffEEfffJPKfS1_S1_S1_EEvPKT0_PKT1_PT2_iii15HIP_vector_typeIjLj3EESB_SB_SB_SB_iiiiiiiiiiiDpT3_,"axG",@progbits,_ZL11k_bin_bcastIXadL_ZL6op_mulffEEfffJPKfS1_S1_S1_EEvPKT0_PKT1_PT2_iii15HIP_vector_typeIjLj3EESB_SB_SB_SB_iiiiiiiiiiiDpT3_,comdat
.Lfunc_end113:
	.size	_ZL11k_bin_bcastIXadL_ZL6op_mulffEEfffJPKfS1_S1_S1_EEvPKT0_PKT1_PT2_iii15HIP_vector_typeIjLj3EESB_SB_SB_SB_iiiiiiiiiiiDpT3_, .Lfunc_end113-_ZL11k_bin_bcastIXadL_ZL6op_mulffEEfffJPKfS1_S1_S1_EEvPKT0_PKT1_PT2_iii15HIP_vector_typeIjLj3EESB_SB_SB_SB_iiiiiiiiiiiDpT3_
                                        ; -- End function
	.section	.AMDGPU.csdata,"",@progbits
; Kernel info:
; codeLenInByte = 976
; NumSgprs: 38
; NumVgprs: 17
; ScratchSize: 0
; MemoryBound: 0
; FloatMode: 240
; IeeeMode: 1
; LDSByteSize: 0 bytes/workgroup (compile time only)
; SGPRBlocks: 4
; VGPRBlocks: 2
; NumSGPRsForWavesPerEU: 38
; NumVGPRsForWavesPerEU: 17
; Occupancy: 16
; WaveLimiterHint : 1
; COMPUTE_PGM_RSRC2:SCRATCH_EN: 0
; COMPUTE_PGM_RSRC2:USER_SGPR: 13
; COMPUTE_PGM_RSRC2:TRAP_HANDLER: 0
; COMPUTE_PGM_RSRC2:TGID_X_EN: 1
; COMPUTE_PGM_RSRC2:TGID_Y_EN: 1
; COMPUTE_PGM_RSRC2:TGID_Z_EN: 1
; COMPUTE_PGM_RSRC2:TIDIG_COMP_CNT: 2
	.section	.text._ZL19k_bin_bcast_unravelIXadL_ZL6op_mulffEE6__halfS0_S0_JPKS0_S2_S2_S2_EEvPKT0_PKT1_PT2_15HIP_vector_typeIjLj3EESC_SC_jSC_SC_SC_SC_SC_SC_iiiiiiiiiiiDpT3_,"axG",@progbits,_ZL19k_bin_bcast_unravelIXadL_ZL6op_mulffEE6__halfS0_S0_JPKS0_S2_S2_S2_EEvPKT0_PKT1_PT2_15HIP_vector_typeIjLj3EESC_SC_jSC_SC_SC_SC_SC_SC_iiiiiiiiiiiDpT3_,comdat
	.globl	_ZL19k_bin_bcast_unravelIXadL_ZL6op_mulffEE6__halfS0_S0_JPKS0_S2_S2_S2_EEvPKT0_PKT1_PT2_15HIP_vector_typeIjLj3EESC_SC_jSC_SC_SC_SC_SC_SC_iiiiiiiiiiiDpT3_ ; -- Begin function _ZL19k_bin_bcast_unravelIXadL_ZL6op_mulffEE6__halfS0_S0_JPKS0_S2_S2_S2_EEvPKT0_PKT1_PT2_15HIP_vector_typeIjLj3EESC_SC_jSC_SC_SC_SC_SC_SC_iiiiiiiiiiiDpT3_
	.p2align	8
	.type	_ZL19k_bin_bcast_unravelIXadL_ZL6op_mulffEE6__halfS0_S0_JPKS0_S2_S2_S2_EEvPKT0_PKT1_PT2_15HIP_vector_typeIjLj3EESC_SC_jSC_SC_SC_SC_SC_SC_iiiiiiiiiiiDpT3_,@function
_ZL19k_bin_bcast_unravelIXadL_ZL6op_mulffEE6__halfS0_S0_JPKS0_S2_S2_S2_EEvPKT0_PKT1_PT2_15HIP_vector_typeIjLj3EESC_SC_jSC_SC_SC_SC_SC_SC_iiiiiiiiiiiDpT3_: ; @_ZL19k_bin_bcast_unravelIXadL_ZL6op_mulffEE6__halfS0_S0_JPKS0_S2_S2_S2_EEvPKT0_PKT1_PT2_15HIP_vector_typeIjLj3EESC_SC_jSC_SC_SC_SC_SC_SC_iiiiiiiiiiiDpT3_
; %bb.0:
	s_clause 0x1
	s_load_b32 s2, s[0:1], 0xe4
	s_load_b256 s[4:11], s[0:1], 0x38
	s_waitcnt lgkmcnt(0)
	s_and_b32 s2, s2, 0xffff
	s_delay_alu instid0(SALU_CYCLE_1) | instskip(SKIP_3) | instid1(VALU_DEP_1)
	v_mad_u64_u32 v[2:3], null, s15, s2, v[0:1]
	s_clause 0x1
	s_load_b128 s[12:15], s[0:1], 0x18
	s_load_b32 s2, s[0:1], 0x2c
	v_mul_hi_u32 v0, v2, s6
	s_delay_alu instid0(VALU_DEP_1) | instskip(NEXT) | instid1(VALU_DEP_1)
	v_add_nc_u32_e32 v0, v2, v0
	v_lshrrev_b32_e32 v1, s7, v0
	s_delay_alu instid0(VALU_DEP_1) | instskip(NEXT) | instid1(VALU_DEP_1)
	v_mul_lo_u32 v0, v1, s8
	v_sub_nc_u32_e32 v0, v2, v0
	s_delay_alu instid0(VALU_DEP_1) | instskip(NEXT) | instid1(VALU_DEP_1)
	v_mul_hi_u32 v2, v0, s9
	v_add_nc_u32_e32 v2, v0, v2
	s_delay_alu instid0(VALU_DEP_1) | instskip(NEXT) | instid1(VALU_DEP_1)
	v_lshrrev_b32_e32 v2, s10, v2
	v_mul_lo_u32 v3, v2, s11
	v_cmp_gt_u32_e64 s3, s4, v2
	v_cmp_gt_u32_e64 s4, s5, v1
	s_delay_alu instid0(VALU_DEP_3) | instskip(SKIP_1) | instid1(VALU_DEP_1)
	v_sub_nc_u32_e32 v0, v0, v3
	s_waitcnt lgkmcnt(0)
	v_mul_hi_u32 v3, v0, s12
	s_delay_alu instid0(VALU_DEP_1) | instskip(NEXT) | instid1(VALU_DEP_1)
	v_add_nc_u32_e32 v3, v0, v3
	v_lshrrev_b32_e32 v3, s13, v3
	s_delay_alu instid0(VALU_DEP_1) | instskip(SKIP_1) | instid1(VALU_DEP_2)
	v_mul_lo_u32 v4, v3, s14
	v_cmp_gt_u32_e64 s2, s2, v3
	v_sub_nc_u32_e32 v0, v0, v4
	s_delay_alu instid0(VALU_DEP_1) | instskip(NEXT) | instid1(VALU_DEP_3)
	v_cmp_gt_u32_e32 vcc_lo, s14, v0
	s_and_b32 s2, vcc_lo, s2
	s_delay_alu instid0(SALU_CYCLE_1) | instskip(NEXT) | instid1(SALU_CYCLE_1)
	s_and_b32 s2, s2, s3
	s_and_b32 s2, s4, s2
	s_delay_alu instid0(SALU_CYCLE_1)
	s_and_saveexec_b32 s3, s2
	s_cbranch_execz .LBB114_5
; %bb.1:
	s_clause 0x4
	s_load_b64 s[2:3], s[0:1], 0x0
	s_load_b128 s[20:23], s[0:1], 0xa8
	s_load_b256 s[4:11], s[0:1], 0x88
	s_load_b128 s[24:27], s[0:1], 0x78
	s_load_b256 s[12:19], s[0:1], 0x58
	s_waitcnt lgkmcnt(0)
	s_cmp_eq_u64 s[2:3], 0
	s_cbranch_scc1 .LBB114_3
; %bb.2:
	v_mul_lo_u32 v4, v1, s10
	v_mul_lo_u32 v6, v2, s9
	;; [unrolled: 1-line block ×3, first 2 shown]
	v_mov_b32_e32 v5, 0
	s_delay_alu instid0(VALU_DEP_2) | instskip(NEXT) | instid1(VALU_DEP_1)
	v_add3_u32 v4, v6, v4, v7
	v_lshlrev_b64 v[6:7], 1, v[4:5]
	v_mul_lo_u32 v4, v0, s7
	s_delay_alu instid0(VALU_DEP_2) | instskip(NEXT) | instid1(VALU_DEP_3)
	v_add_co_u32 v6, vcc_lo, s2, v6
	v_add_co_ci_u32_e32 v7, vcc_lo, s3, v7, vcc_lo
	s_delay_alu instid0(VALU_DEP_3) | instskip(NEXT) | instid1(VALU_DEP_1)
	v_lshlrev_b64 v[4:5], 1, v[4:5]
	v_add_co_u32 v4, vcc_lo, v6, v4
	s_delay_alu instid0(VALU_DEP_2)
	v_add_co_ci_u32_e32 v5, vcc_lo, v7, v5, vcc_lo
	global_load_u16 v4, v[4:5], off
	s_waitcnt vmcnt(0)
	v_cvt_f32_f16_e32 v4, v4
	s_branch .LBB114_4
.LBB114_3:
	v_mov_b32_e32 v4, 0
.LBB114_4:
	v_mul_hi_u32 v5, s25, v1
	v_mul_hi_u32 v6, s18, v2
	;; [unrolled: 1-line block ×4, first 2 shown]
	s_delay_alu instid0(VALU_DEP_4) | instskip(NEXT) | instid1(VALU_DEP_4)
	v_add_nc_u32_e32 v5, v1, v5
	v_add_nc_u32_e32 v6, v2, v6
	s_delay_alu instid0(VALU_DEP_4) | instskip(NEXT) | instid1(VALU_DEP_4)
	v_add_nc_u32_e32 v7, v3, v7
	v_add_nc_u32_e32 v8, v0, v8
	s_delay_alu instid0(VALU_DEP_4) | instskip(NEXT) | instid1(VALU_DEP_4)
	v_lshrrev_b32_e32 v5, s26, v5
	v_lshrrev_b32_e32 v6, s19, v6
	s_delay_alu instid0(VALU_DEP_4) | instskip(NEXT) | instid1(VALU_DEP_4)
	v_lshrrev_b32_e32 v7, s16, v7
	v_lshrrev_b32_e32 v8, s13, v8
	s_delay_alu instid0(VALU_DEP_4) | instskip(NEXT) | instid1(VALU_DEP_4)
	v_mul_lo_u32 v5, v5, s27
	v_mul_lo_u32 v6, v6, s24
	s_delay_alu instid0(VALU_DEP_4) | instskip(NEXT) | instid1(VALU_DEP_4)
	v_mul_lo_u32 v7, v7, s17
	v_mul_lo_u32 v8, v8, s14
	s_delay_alu instid0(VALU_DEP_4) | instskip(NEXT) | instid1(VALU_DEP_4)
	v_sub_nc_u32_e32 v5, v1, v5
	v_sub_nc_u32_e32 v6, v2, v6
	s_delay_alu instid0(VALU_DEP_4) | instskip(NEXT) | instid1(VALU_DEP_4)
	v_sub_nc_u32_e32 v7, v3, v7
	v_sub_nc_u32_e32 v8, v0, v8
	v_mul_lo_u32 v1, v1, s6
	v_mul_lo_u32 v5, v5, s22
	;; [unrolled: 1-line block ×5, first 2 shown]
	s_clause 0x1
	s_load_b256 s[8:15], s[0:1], 0xb8
	s_load_b64 s[0:1], s[0:1], 0x10
	v_mul_lo_u32 v2, v2, s5
	s_delay_alu instid0(VALU_DEP_3) | instskip(NEXT) | instid1(VALU_DEP_3)
	v_add3_u32 v5, v6, v5, v7
	v_ashrrev_i32_e32 v6, 31, v8
	s_delay_alu instid0(VALU_DEP_2) | instskip(SKIP_1) | instid1(VALU_DEP_2)
	v_ashrrev_i32_e32 v7, 31, v5
	v_add_co_u32 v5, vcc_lo, v8, v5
	v_add_co_ci_u32_e32 v6, vcc_lo, v6, v7, vcc_lo
	s_delay_alu instid0(VALU_DEP_1) | instskip(SKIP_1) | instid1(VALU_DEP_1)
	v_lshlrev_b64 v[5:6], 1, v[5:6]
	s_waitcnt lgkmcnt(0)
	v_add_co_u32 v7, vcc_lo, s8, v5
	s_delay_alu instid0(VALU_DEP_2)
	v_add_co_ci_u32_e32 v8, vcc_lo, s9, v6, vcc_lo
	v_add_co_u32 v9, vcc_lo, s10, v5
	v_add_co_ci_u32_e32 v10, vcc_lo, s11, v6, vcc_lo
	global_load_u16 v11, v[7:8], off
	v_add_co_u32 v7, vcc_lo, s12, v5
	v_add_co_ci_u32_e32 v8, vcc_lo, s13, v6, vcc_lo
	global_load_u16 v9, v[9:10], off
	global_load_u16 v7, v[7:8], off
	v_add_co_u32 v5, vcc_lo, s14, v5
	v_add_co_ci_u32_e32 v6, vcc_lo, s15, v6, vcc_lo
	global_load_u16 v5, v[5:6], off
	v_mul_lo_u32 v6, v3, s4
	v_mov_b32_e32 v3, 0
	s_delay_alu instid0(VALU_DEP_2) | instskip(NEXT) | instid1(VALU_DEP_2)
	v_add3_u32 v2, v2, v1, v6
	v_mov_b32_e32 v1, v3
	s_delay_alu instid0(VALU_DEP_2) | instskip(NEXT) | instid1(VALU_DEP_2)
	v_lshlrev_b64 v[2:3], 1, v[2:3]
	v_lshlrev_b64 v[0:1], 1, v[0:1]
	s_delay_alu instid0(VALU_DEP_2) | instskip(NEXT) | instid1(VALU_DEP_3)
	v_add_co_u32 v2, vcc_lo, s0, v2
	v_add_co_ci_u32_e32 v3, vcc_lo, s1, v3, vcc_lo
	s_delay_alu instid0(VALU_DEP_2) | instskip(NEXT) | instid1(VALU_DEP_2)
	v_add_co_u32 v0, vcc_lo, v2, v0
	v_add_co_ci_u32_e32 v1, vcc_lo, v3, v1, vcc_lo
	s_waitcnt vmcnt(3)
	v_cvt_f32_f16_e32 v8, v11
	s_delay_alu instid0(VALU_DEP_1) | instskip(SKIP_4) | instid1(VALU_DEP_2)
	v_mul_f32_e32 v4, v4, v8
	s_waitcnt vmcnt(2)
	v_cvt_f32_f16_e32 v9, v9
	s_waitcnt vmcnt(1)
	v_cvt_f32_f16_e32 v6, v7
	v_mul_f32_e32 v4, v4, v9
	s_delay_alu instid0(VALU_DEP_1) | instskip(SKIP_1) | instid1(VALU_DEP_1)
	v_mul_f32_e32 v4, v4, v6
	s_waitcnt vmcnt(0)
	v_fma_mixlo_f16 v4, v4, v5, 0 op_sel_hi:[0,1,0]
	global_store_b16 v[0:1], v4, off
.LBB114_5:
	s_nop 0
	s_sendmsg sendmsg(MSG_DEALLOC_VGPRS)
	s_endpgm
	.section	.rodata,"a",@progbits
	.p2align	6, 0x0
	.amdhsa_kernel _ZL19k_bin_bcast_unravelIXadL_ZL6op_mulffEE6__halfS0_S0_JPKS0_S2_S2_S2_EEvPKT0_PKT1_PT2_15HIP_vector_typeIjLj3EESC_SC_jSC_SC_SC_SC_SC_SC_iiiiiiiiiiiDpT3_
		.amdhsa_group_segment_fixed_size 0
		.amdhsa_private_segment_fixed_size 0
		.amdhsa_kernarg_size 472
		.amdhsa_user_sgpr_count 15
		.amdhsa_user_sgpr_dispatch_ptr 0
		.amdhsa_user_sgpr_queue_ptr 0
		.amdhsa_user_sgpr_kernarg_segment_ptr 1
		.amdhsa_user_sgpr_dispatch_id 0
		.amdhsa_user_sgpr_private_segment_size 0
		.amdhsa_wavefront_size32 1
		.amdhsa_uses_dynamic_stack 0
		.amdhsa_enable_private_segment 0
		.amdhsa_system_sgpr_workgroup_id_x 1
		.amdhsa_system_sgpr_workgroup_id_y 0
		.amdhsa_system_sgpr_workgroup_id_z 0
		.amdhsa_system_sgpr_workgroup_info 0
		.amdhsa_system_vgpr_workitem_id 0
		.amdhsa_next_free_vgpr 12
		.amdhsa_next_free_sgpr 28
		.amdhsa_reserve_vcc 1
		.amdhsa_float_round_mode_32 0
		.amdhsa_float_round_mode_16_64 0
		.amdhsa_float_denorm_mode_32 3
		.amdhsa_float_denorm_mode_16_64 3
		.amdhsa_dx10_clamp 1
		.amdhsa_ieee_mode 1
		.amdhsa_fp16_overflow 0
		.amdhsa_workgroup_processor_mode 1
		.amdhsa_memory_ordered 1
		.amdhsa_forward_progress 0
		.amdhsa_shared_vgpr_count 0
		.amdhsa_exception_fp_ieee_invalid_op 0
		.amdhsa_exception_fp_denorm_src 0
		.amdhsa_exception_fp_ieee_div_zero 0
		.amdhsa_exception_fp_ieee_overflow 0
		.amdhsa_exception_fp_ieee_underflow 0
		.amdhsa_exception_fp_ieee_inexact 0
		.amdhsa_exception_int_div_zero 0
	.end_amdhsa_kernel
	.section	.text._ZL19k_bin_bcast_unravelIXadL_ZL6op_mulffEE6__halfS0_S0_JPKS0_S2_S2_S2_EEvPKT0_PKT1_PT2_15HIP_vector_typeIjLj3EESC_SC_jSC_SC_SC_SC_SC_SC_iiiiiiiiiiiDpT3_,"axG",@progbits,_ZL19k_bin_bcast_unravelIXadL_ZL6op_mulffEE6__halfS0_S0_JPKS0_S2_S2_S2_EEvPKT0_PKT1_PT2_15HIP_vector_typeIjLj3EESC_SC_jSC_SC_SC_SC_SC_SC_iiiiiiiiiiiDpT3_,comdat
.Lfunc_end114:
	.size	_ZL19k_bin_bcast_unravelIXadL_ZL6op_mulffEE6__halfS0_S0_JPKS0_S2_S2_S2_EEvPKT0_PKT1_PT2_15HIP_vector_typeIjLj3EESC_SC_jSC_SC_SC_SC_SC_SC_iiiiiiiiiiiDpT3_, .Lfunc_end114-_ZL19k_bin_bcast_unravelIXadL_ZL6op_mulffEE6__halfS0_S0_JPKS0_S2_S2_S2_EEvPKT0_PKT1_PT2_15HIP_vector_typeIjLj3EESC_SC_jSC_SC_SC_SC_SC_SC_iiiiiiiiiiiDpT3_
                                        ; -- End function
	.section	.AMDGPU.csdata,"",@progbits
; Kernel info:
; codeLenInByte = 924
; NumSgprs: 30
; NumVgprs: 12
; ScratchSize: 0
; MemoryBound: 0
; FloatMode: 240
; IeeeMode: 1
; LDSByteSize: 0 bytes/workgroup (compile time only)
; SGPRBlocks: 3
; VGPRBlocks: 1
; NumSGPRsForWavesPerEU: 30
; NumVGPRsForWavesPerEU: 12
; Occupancy: 16
; WaveLimiterHint : 1
; COMPUTE_PGM_RSRC2:SCRATCH_EN: 0
; COMPUTE_PGM_RSRC2:USER_SGPR: 15
; COMPUTE_PGM_RSRC2:TRAP_HANDLER: 0
; COMPUTE_PGM_RSRC2:TGID_X_EN: 1
; COMPUTE_PGM_RSRC2:TGID_Y_EN: 0
; COMPUTE_PGM_RSRC2:TGID_Z_EN: 0
; COMPUTE_PGM_RSRC2:TIDIG_COMP_CNT: 0
	.section	.text._ZL11k_bin_bcastIXadL_ZL6op_mulffEE6__halfS0_S0_JPKS0_S2_S2_S2_EEvPKT0_PKT1_PT2_iii15HIP_vector_typeIjLj3EESC_SC_SC_SC_iiiiiiiiiiiDpT3_,"axG",@progbits,_ZL11k_bin_bcastIXadL_ZL6op_mulffEE6__halfS0_S0_JPKS0_S2_S2_S2_EEvPKT0_PKT1_PT2_iii15HIP_vector_typeIjLj3EESC_SC_SC_SC_iiiiiiiiiiiDpT3_,comdat
	.globl	_ZL11k_bin_bcastIXadL_ZL6op_mulffEE6__halfS0_S0_JPKS0_S2_S2_S2_EEvPKT0_PKT1_PT2_iii15HIP_vector_typeIjLj3EESC_SC_SC_SC_iiiiiiiiiiiDpT3_ ; -- Begin function _ZL11k_bin_bcastIXadL_ZL6op_mulffEE6__halfS0_S0_JPKS0_S2_S2_S2_EEvPKT0_PKT1_PT2_iii15HIP_vector_typeIjLj3EESC_SC_SC_SC_iiiiiiiiiiiDpT3_
	.p2align	8
	.type	_ZL11k_bin_bcastIXadL_ZL6op_mulffEE6__halfS0_S0_JPKS0_S2_S2_S2_EEvPKT0_PKT1_PT2_iii15HIP_vector_typeIjLj3EESC_SC_SC_SC_iiiiiiiiiiiDpT3_,@function
_ZL11k_bin_bcastIXadL_ZL6op_mulffEE6__halfS0_S0_JPKS0_S2_S2_S2_EEvPKT0_PKT1_PT2_iii15HIP_vector_typeIjLj3EESC_SC_SC_SC_iiiiiiiiiiiDpT3_: ; @_ZL11k_bin_bcastIXadL_ZL6op_mulffEE6__halfS0_S0_JPKS0_S2_S2_S2_EEvPKT0_PKT1_PT2_iii15HIP_vector_typeIjLj3EESC_SC_SC_SC_iiiiiiiiiiiDpT3_
; %bb.0:
	s_clause 0x1
	s_load_b64 s[2:3], s[0:1], 0xbc
	s_load_b256 s[16:23], s[0:1], 0x18
	v_bfe_u32 v1, v0, 20, 10
	s_add_u32 s34, s0, 0xb0
	s_addc_u32 s35, s1, 0
	s_waitcnt lgkmcnt(0)
	s_and_b32 s3, s3, 0xffff
	s_delay_alu instid0(SALU_CYCLE_1) | instskip(SKIP_3) | instid1(VALU_DEP_3)
	v_mad_u64_u32 v[4:5], null, s15, s3, v[1:2]
	v_and_b32_e32 v2, 0x3ff, v0
	v_bfe_u32 v5, v0, 10, 10
	s_lshr_b32 s3, s2, 16
	v_mul_hi_u32 v1, v4, s19
	s_and_b32 s19, s2, 0xffff
	s_delay_alu instid0(VALU_DEP_1) | instskip(NEXT) | instid1(VALU_DEP_1)
	v_add_nc_u32_e32 v1, v4, v1
	v_lshrrev_b32_e32 v3, s20, v1
	s_delay_alu instid0(VALU_DEP_1) | instskip(SKIP_1) | instid1(VALU_DEP_2)
	v_mul_lo_u32 v6, v3, s21
	v_mad_u64_u32 v[0:1], null, s13, s19, v[2:3]
	v_mad_u64_u32 v[1:2], null, s14, s3, v[5:6]
	v_sub_nc_u32_e32 v4, v4, v6
	s_delay_alu instid0(VALU_DEP_3) | instskip(SKIP_1) | instid1(VALU_DEP_3)
	v_cmp_gt_u32_e32 vcc_lo, s16, v0
	v_cmp_gt_u32_e64 s3, s18, v3
	v_cmp_gt_u32_e64 s4, s21, v4
	;; [unrolled: 1-line block ×3, first 2 shown]
	s_delay_alu instid0(VALU_DEP_1)
	s_and_b32 s2, vcc_lo, s2
	s_delay_alu instid0(VALU_DEP_3) | instid1(SALU_CYCLE_1)
	s_and_b32 s2, s2, s3
	s_delay_alu instid0(VALU_DEP_2) | instid1(SALU_CYCLE_1)
	s_and_b32 s2, s2, s4
	s_delay_alu instid0(SALU_CYCLE_1)
	s_and_saveexec_b32 s3, s2
	s_cbranch_execz .LBB115_6
; %bb.1:
	v_cmp_gt_i32_e32 vcc_lo, s16, v0
	s_and_b32 exec_lo, exec_lo, vcc_lo
	s_cbranch_execz .LBB115_6
; %bb.2:
	s_clause 0x2
	s_load_b256 s[24:31], s[0:1], 0x3c
	s_load_b256 s[4:11], s[0:1], 0x60
	s_load_b128 s[12:15], s[0:1], 0x80
	s_waitcnt lgkmcnt(0)
	s_load_b32 s15, s[34:35], 0x0
	s_clause 0x1
	s_load_b32 s17, s[0:1], 0x5c
	s_load_b64 s[2:3], s[0:1], 0x0
	v_mul_hi_u32 v2, s24, v1
	v_mul_hi_u32 v5, s27, v3
	;; [unrolled: 1-line block ×3, first 2 shown]
	v_mul_lo_u32 v9, v4, s10
	v_mul_lo_u32 v10, v3, s9
	;; [unrolled: 1-line block ×3, first 2 shown]
	v_mov_b32_e32 v6, 0
	v_mul_lo_u32 v12, v4, s6
	v_add_nc_u32_e32 v2, v1, v2
	v_add_nc_u32_e32 v5, v3, v5
	s_delay_alu instid0(VALU_DEP_4) | instskip(SKIP_1) | instid1(VALU_DEP_4)
	v_dual_mov_b32 v8, v6 :: v_dual_add_nc_u32 v7, v4, v7
	v_mul_lo_u32 v13, v3, s5
	v_lshrrev_b32_e32 v2, s25, v2
	s_delay_alu instid0(VALU_DEP_4) | instskip(NEXT) | instid1(VALU_DEP_4)
	v_lshrrev_b32_e32 v15, s28, v5
	v_lshrrev_b32_e32 v16, s31, v7
	v_mul_lo_u32 v14, v1, s4
	s_clause 0x1
	s_load_b32 s6, s[0:1], 0x38
	s_load_b64 s[4:5], s[0:1], 0x10
	v_add3_u32 v5, v10, v11, v9
	v_mul_lo_u32 v9, v2, s26
	v_mul_lo_u32 v10, v15, s29
	s_waitcnt lgkmcnt(0)
	v_mul_lo_u32 v11, v16, s17
	s_load_b256 s[24:31], s[0:1], 0x90
	v_lshlrev_b64 v[5:6], 1, v[5:6]
	v_add3_u32 v7, v13, v14, v12
	s_cmp_lg_u64 s[2:3], 0
	v_mul_lo_u32 v2, s7, v0
	v_sub_nc_u32_e32 v1, v1, v9
	v_sub_nc_u32_e32 v3, v3, v10
	;; [unrolled: 1-line block ×3, first 2 shown]
	v_add_co_u32 v9, vcc_lo, s2, v5
	v_add_co_ci_u32_e32 v5, vcc_lo, s3, v6, vcc_lo
	v_lshlrev_b64 v[7:8], 1, v[7:8]
	s_delay_alu instid0(VALU_DEP_4)
	v_mul_lo_u32 v10, v4, s14
	v_mul_lo_u32 v3, v3, s13
	;; [unrolled: 1-line block ×3, first 2 shown]
	s_cselect_b32 vcc_lo, -1, 0
	s_mul_i32 s2, s15, s19
	v_cndmask_b32_e32 v5, 0, v5, vcc_lo
	v_cndmask_b32_e32 v4, 0, v9, vcc_lo
	v_add_co_u32 v6, vcc_lo, s4, v7
	v_add_co_ci_u32_e32 v7, vcc_lo, s5, v8, vcc_lo
	s_delay_alu instid0(VALU_DEP_3)
	v_cmp_ne_u64_e32 vcc_lo, 0, v[4:5]
	v_add3_u32 v8, v3, v10, v1
	s_mov_b32 s3, 0
	s_mul_i32 s4, s2, s7
	s_sub_i32 s5, 0, s6
	s_branch .LBB115_4
.LBB115_3:                              ;   in Loop: Header=BB115_4 Depth=1
	s_or_b32 exec_lo, exec_lo, s1
	v_mul_hi_u32 v3, s22, v0
	v_add_nc_u32_e32 v2, s4, v2
	s_delay_alu instid0(VALU_DEP_2) | instskip(NEXT) | instid1(VALU_DEP_1)
	v_add_nc_u32_e32 v3, v0, v3
	v_lshrrev_b32_e32 v3, s23, v3
	s_delay_alu instid0(VALU_DEP_1) | instskip(NEXT) | instid1(VALU_DEP_1)
	v_mad_u64_u32 v[9:10], null, s5, v3, v[0:1]
	v_mul_lo_u32 v3, v9, s11
	s_delay_alu instid0(VALU_DEP_1) | instskip(NEXT) | instid1(VALU_DEP_1)
	v_add_co_u32 v9, s0, v3, v8
	v_add_co_ci_u32_e64 v10, null, 0, 0, s0
	s_delay_alu instid0(VALU_DEP_1) | instskip(SKIP_1) | instid1(VALU_DEP_1)
	v_lshlrev_b64 v[9:10], 1, v[9:10]
	s_waitcnt lgkmcnt(0)
	v_add_co_u32 v11, s0, s24, v9
	s_delay_alu instid0(VALU_DEP_1) | instskip(SKIP_1) | instid1(VALU_DEP_1)
	v_add_co_ci_u32_e64 v12, s0, s25, v10, s0
	v_add_co_u32 v13, s0, s26, v9
	v_add_co_ci_u32_e64 v14, s0, s27, v10, s0
	global_load_u16 v3, v[11:12], off
	v_add_co_u32 v11, s0, s28, v9
	s_delay_alu instid0(VALU_DEP_1) | instskip(SKIP_3) | instid1(VALU_DEP_1)
	v_add_co_ci_u32_e64 v12, s0, s29, v10, s0
	global_load_u16 v13, v[13:14], off
	global_load_u16 v11, v[11:12], off
	v_add_co_u32 v9, s0, s30, v9
	v_add_co_ci_u32_e64 v10, s0, s31, v10, s0
	global_load_u16 v12, v[9:10], off
	s_waitcnt vmcnt(3)
	v_cvt_f32_f16_e32 v3, v3
	s_delay_alu instid0(VALU_DEP_1)
	v_mul_f32_e32 v3, v1, v3
	s_waitcnt vmcnt(2)
	v_cvt_f32_f16_e32 v9, v13
	v_ashrrev_i32_e32 v1, 31, v0
	s_waitcnt vmcnt(1)
	v_cvt_f32_f16_e32 v11, v11
	s_delay_alu instid0(VALU_DEP_3) | instskip(NEXT) | instid1(VALU_DEP_3)
	v_mul_f32_e32 v3, v3, v9
	v_lshlrev_b64 v[9:10], 1, v[0:1]
	s_delay_alu instid0(VALU_DEP_2) | instskip(NEXT) | instid1(VALU_DEP_1)
	v_dual_mul_f32 v1, v3, v11 :: v_dual_add_nc_u32 v0, s2, v0
	v_cmp_le_i32_e64 s0, s16, v0
	s_delay_alu instid0(VALU_DEP_3) | instskip(SKIP_1) | instid1(VALU_DEP_3)
	v_add_co_u32 v9, s1, v6, v9
	s_waitcnt vmcnt(0)
	v_fma_mixlo_f16 v1, v1, v12, 0 op_sel_hi:[0,1,0]
	v_add_co_ci_u32_e64 v10, s1, v7, v10, s1
	s_or_b32 s3, s0, s3
	global_store_b16 v[9:10], v1, off
	s_and_not1_b32 exec_lo, exec_lo, s3
	s_cbranch_execz .LBB115_6
.LBB115_4:                              ; =>This Inner Loop Header: Depth=1
	v_mov_b32_e32 v1, 0
	s_and_saveexec_b32 s1, vcc_lo
	s_cbranch_execz .LBB115_3
; %bb.5:                                ;   in Loop: Header=BB115_4 Depth=1
	v_ashrrev_i32_e32 v3, 31, v2
	s_delay_alu instid0(VALU_DEP_1) | instskip(NEXT) | instid1(VALU_DEP_1)
	v_lshlrev_b64 v[9:10], 1, v[2:3]
	v_add_co_u32 v9, s0, v4, v9
	s_delay_alu instid0(VALU_DEP_1)
	v_add_co_ci_u32_e64 v10, s0, v5, v10, s0
	global_load_u16 v1, v[9:10], off
	s_waitcnt vmcnt(0)
	v_cvt_f32_f16_e32 v1, v1
	s_branch .LBB115_3
.LBB115_6:
	s_nop 0
	s_sendmsg sendmsg(MSG_DEALLOC_VGPRS)
	s_endpgm
	.section	.rodata,"a",@progbits
	.p2align	6, 0x0
	.amdhsa_kernel _ZL11k_bin_bcastIXadL_ZL6op_mulffEE6__halfS0_S0_JPKS0_S2_S2_S2_EEvPKT0_PKT1_PT2_iii15HIP_vector_typeIjLj3EESC_SC_SC_SC_iiiiiiiiiiiDpT3_
		.amdhsa_group_segment_fixed_size 0
		.amdhsa_private_segment_fixed_size 0
		.amdhsa_kernarg_size 432
		.amdhsa_user_sgpr_count 13
		.amdhsa_user_sgpr_dispatch_ptr 0
		.amdhsa_user_sgpr_queue_ptr 0
		.amdhsa_user_sgpr_kernarg_segment_ptr 1
		.amdhsa_user_sgpr_dispatch_id 0
		.amdhsa_user_sgpr_private_segment_size 0
		.amdhsa_wavefront_size32 1
		.amdhsa_uses_dynamic_stack 0
		.amdhsa_enable_private_segment 0
		.amdhsa_system_sgpr_workgroup_id_x 1
		.amdhsa_system_sgpr_workgroup_id_y 1
		.amdhsa_system_sgpr_workgroup_id_z 1
		.amdhsa_system_sgpr_workgroup_info 0
		.amdhsa_system_vgpr_workitem_id 2
		.amdhsa_next_free_vgpr 17
		.amdhsa_next_free_sgpr 36
		.amdhsa_reserve_vcc 1
		.amdhsa_float_round_mode_32 0
		.amdhsa_float_round_mode_16_64 0
		.amdhsa_float_denorm_mode_32 3
		.amdhsa_float_denorm_mode_16_64 3
		.amdhsa_dx10_clamp 1
		.amdhsa_ieee_mode 1
		.amdhsa_fp16_overflow 0
		.amdhsa_workgroup_processor_mode 1
		.amdhsa_memory_ordered 1
		.amdhsa_forward_progress 0
		.amdhsa_shared_vgpr_count 0
		.amdhsa_exception_fp_ieee_invalid_op 0
		.amdhsa_exception_fp_denorm_src 0
		.amdhsa_exception_fp_ieee_div_zero 0
		.amdhsa_exception_fp_ieee_overflow 0
		.amdhsa_exception_fp_ieee_underflow 0
		.amdhsa_exception_fp_ieee_inexact 0
		.amdhsa_exception_int_div_zero 0
	.end_amdhsa_kernel
	.section	.text._ZL11k_bin_bcastIXadL_ZL6op_mulffEE6__halfS0_S0_JPKS0_S2_S2_S2_EEvPKT0_PKT1_PT2_iii15HIP_vector_typeIjLj3EESC_SC_SC_SC_iiiiiiiiiiiDpT3_,"axG",@progbits,_ZL11k_bin_bcastIXadL_ZL6op_mulffEE6__halfS0_S0_JPKS0_S2_S2_S2_EEvPKT0_PKT1_PT2_iii15HIP_vector_typeIjLj3EESC_SC_SC_SC_iiiiiiiiiiiDpT3_,comdat
.Lfunc_end115:
	.size	_ZL11k_bin_bcastIXadL_ZL6op_mulffEE6__halfS0_S0_JPKS0_S2_S2_S2_EEvPKT0_PKT1_PT2_iii15HIP_vector_typeIjLj3EESC_SC_SC_SC_iiiiiiiiiiiDpT3_, .Lfunc_end115-_ZL11k_bin_bcastIXadL_ZL6op_mulffEE6__halfS0_S0_JPKS0_S2_S2_S2_EEvPKT0_PKT1_PT2_iii15HIP_vector_typeIjLj3EESC_SC_SC_SC_iiiiiiiiiiiDpT3_
                                        ; -- End function
	.section	.AMDGPU.csdata,"",@progbits
; Kernel info:
; codeLenInByte = 1000
; NumSgprs: 38
; NumVgprs: 17
; ScratchSize: 0
; MemoryBound: 0
; FloatMode: 240
; IeeeMode: 1
; LDSByteSize: 0 bytes/workgroup (compile time only)
; SGPRBlocks: 4
; VGPRBlocks: 2
; NumSGPRsForWavesPerEU: 38
; NumVGPRsForWavesPerEU: 17
; Occupancy: 16
; WaveLimiterHint : 1
; COMPUTE_PGM_RSRC2:SCRATCH_EN: 0
; COMPUTE_PGM_RSRC2:USER_SGPR: 13
; COMPUTE_PGM_RSRC2:TRAP_HANDLER: 0
; COMPUTE_PGM_RSRC2:TGID_X_EN: 1
; COMPUTE_PGM_RSRC2:TGID_Y_EN: 1
; COMPUTE_PGM_RSRC2:TGID_Z_EN: 1
; COMPUTE_PGM_RSRC2:TIDIG_COMP_CNT: 2
	.section	.text._ZL19k_bin_bcast_unravelIXadL_ZL6op_mulffEE6__halffS0_JPKfS2_S2_S2_EEvPKT0_PKT1_PT2_15HIP_vector_typeIjLj3EESC_SC_jSC_SC_SC_SC_SC_SC_iiiiiiiiiiiDpT3_,"axG",@progbits,_ZL19k_bin_bcast_unravelIXadL_ZL6op_mulffEE6__halffS0_JPKfS2_S2_S2_EEvPKT0_PKT1_PT2_15HIP_vector_typeIjLj3EESC_SC_jSC_SC_SC_SC_SC_SC_iiiiiiiiiiiDpT3_,comdat
	.globl	_ZL19k_bin_bcast_unravelIXadL_ZL6op_mulffEE6__halffS0_JPKfS2_S2_S2_EEvPKT0_PKT1_PT2_15HIP_vector_typeIjLj3EESC_SC_jSC_SC_SC_SC_SC_SC_iiiiiiiiiiiDpT3_ ; -- Begin function _ZL19k_bin_bcast_unravelIXadL_ZL6op_mulffEE6__halffS0_JPKfS2_S2_S2_EEvPKT0_PKT1_PT2_15HIP_vector_typeIjLj3EESC_SC_jSC_SC_SC_SC_SC_SC_iiiiiiiiiiiDpT3_
	.p2align	8
	.type	_ZL19k_bin_bcast_unravelIXadL_ZL6op_mulffEE6__halffS0_JPKfS2_S2_S2_EEvPKT0_PKT1_PT2_15HIP_vector_typeIjLj3EESC_SC_jSC_SC_SC_SC_SC_SC_iiiiiiiiiiiDpT3_,@function
_ZL19k_bin_bcast_unravelIXadL_ZL6op_mulffEE6__halffS0_JPKfS2_S2_S2_EEvPKT0_PKT1_PT2_15HIP_vector_typeIjLj3EESC_SC_jSC_SC_SC_SC_SC_SC_iiiiiiiiiiiDpT3_: ; @_ZL19k_bin_bcast_unravelIXadL_ZL6op_mulffEE6__halffS0_JPKfS2_S2_S2_EEvPKT0_PKT1_PT2_15HIP_vector_typeIjLj3EESC_SC_jSC_SC_SC_SC_SC_SC_iiiiiiiiiiiDpT3_
; %bb.0:
	s_clause 0x1
	s_load_b32 s2, s[0:1], 0xe4
	s_load_b256 s[4:11], s[0:1], 0x38
	s_waitcnt lgkmcnt(0)
	s_and_b32 s2, s2, 0xffff
	s_delay_alu instid0(SALU_CYCLE_1) | instskip(SKIP_3) | instid1(VALU_DEP_1)
	v_mad_u64_u32 v[2:3], null, s15, s2, v[0:1]
	s_clause 0x1
	s_load_b128 s[12:15], s[0:1], 0x18
	s_load_b32 s2, s[0:1], 0x2c
	v_mul_hi_u32 v0, v2, s6
	s_delay_alu instid0(VALU_DEP_1) | instskip(NEXT) | instid1(VALU_DEP_1)
	v_add_nc_u32_e32 v0, v2, v0
	v_lshrrev_b32_e32 v1, s7, v0
	s_delay_alu instid0(VALU_DEP_1) | instskip(NEXT) | instid1(VALU_DEP_1)
	v_mul_lo_u32 v0, v1, s8
	v_sub_nc_u32_e32 v0, v2, v0
	s_delay_alu instid0(VALU_DEP_1) | instskip(NEXT) | instid1(VALU_DEP_1)
	v_mul_hi_u32 v2, v0, s9
	v_add_nc_u32_e32 v2, v0, v2
	s_delay_alu instid0(VALU_DEP_1) | instskip(NEXT) | instid1(VALU_DEP_1)
	v_lshrrev_b32_e32 v2, s10, v2
	v_mul_lo_u32 v3, v2, s11
	v_cmp_gt_u32_e64 s3, s4, v2
	v_cmp_gt_u32_e64 s4, s5, v1
	s_delay_alu instid0(VALU_DEP_3) | instskip(SKIP_1) | instid1(VALU_DEP_1)
	v_sub_nc_u32_e32 v0, v0, v3
	s_waitcnt lgkmcnt(0)
	v_mul_hi_u32 v3, v0, s12
	s_delay_alu instid0(VALU_DEP_1) | instskip(NEXT) | instid1(VALU_DEP_1)
	v_add_nc_u32_e32 v3, v0, v3
	v_lshrrev_b32_e32 v3, s13, v3
	s_delay_alu instid0(VALU_DEP_1) | instskip(SKIP_1) | instid1(VALU_DEP_2)
	v_mul_lo_u32 v4, v3, s14
	v_cmp_gt_u32_e64 s2, s2, v3
	v_sub_nc_u32_e32 v0, v0, v4
	s_delay_alu instid0(VALU_DEP_1) | instskip(NEXT) | instid1(VALU_DEP_3)
	v_cmp_gt_u32_e32 vcc_lo, s14, v0
	s_and_b32 s2, vcc_lo, s2
	s_delay_alu instid0(SALU_CYCLE_1) | instskip(NEXT) | instid1(SALU_CYCLE_1)
	s_and_b32 s2, s2, s3
	s_and_b32 s2, s4, s2
	s_delay_alu instid0(SALU_CYCLE_1)
	s_and_saveexec_b32 s3, s2
	s_cbranch_execz .LBB116_5
; %bb.1:
	s_clause 0x4
	s_load_b64 s[2:3], s[0:1], 0x0
	s_load_b128 s[20:23], s[0:1], 0xa8
	s_load_b256 s[4:11], s[0:1], 0x88
	s_load_b128 s[24:27], s[0:1], 0x78
	s_load_b256 s[12:19], s[0:1], 0x58
	s_waitcnt lgkmcnt(0)
	s_cmp_eq_u64 s[2:3], 0
	s_cbranch_scc1 .LBB116_3
; %bb.2:
	v_mul_lo_u32 v4, v1, s10
	v_mul_lo_u32 v6, v2, s9
	;; [unrolled: 1-line block ×3, first 2 shown]
	v_mov_b32_e32 v5, 0
	s_delay_alu instid0(VALU_DEP_2) | instskip(NEXT) | instid1(VALU_DEP_1)
	v_add3_u32 v4, v6, v4, v7
	v_lshlrev_b64 v[6:7], 1, v[4:5]
	v_mul_lo_u32 v4, v0, s7
	s_delay_alu instid0(VALU_DEP_2) | instskip(NEXT) | instid1(VALU_DEP_3)
	v_add_co_u32 v6, vcc_lo, s2, v6
	v_add_co_ci_u32_e32 v7, vcc_lo, s3, v7, vcc_lo
	s_delay_alu instid0(VALU_DEP_3) | instskip(NEXT) | instid1(VALU_DEP_1)
	v_lshlrev_b64 v[4:5], 1, v[4:5]
	v_add_co_u32 v4, vcc_lo, v6, v4
	s_delay_alu instid0(VALU_DEP_2)
	v_add_co_ci_u32_e32 v5, vcc_lo, v7, v5, vcc_lo
	global_load_u16 v4, v[4:5], off
	s_waitcnt vmcnt(0)
	v_cvt_f32_f16_e32 v4, v4
	s_branch .LBB116_4
.LBB116_3:
	v_mov_b32_e32 v4, 0
.LBB116_4:
	v_mul_hi_u32 v5, s25, v1
	v_mul_hi_u32 v6, s18, v2
	;; [unrolled: 1-line block ×4, first 2 shown]
	s_delay_alu instid0(VALU_DEP_4) | instskip(NEXT) | instid1(VALU_DEP_4)
	v_add_nc_u32_e32 v5, v1, v5
	v_add_nc_u32_e32 v6, v2, v6
	s_delay_alu instid0(VALU_DEP_4) | instskip(NEXT) | instid1(VALU_DEP_4)
	v_add_nc_u32_e32 v7, v3, v7
	v_add_nc_u32_e32 v8, v0, v8
	s_delay_alu instid0(VALU_DEP_4) | instskip(NEXT) | instid1(VALU_DEP_4)
	v_lshrrev_b32_e32 v5, s26, v5
	v_lshrrev_b32_e32 v6, s19, v6
	s_delay_alu instid0(VALU_DEP_4) | instskip(NEXT) | instid1(VALU_DEP_4)
	v_lshrrev_b32_e32 v7, s16, v7
	v_lshrrev_b32_e32 v8, s13, v8
	s_delay_alu instid0(VALU_DEP_4) | instskip(NEXT) | instid1(VALU_DEP_4)
	v_mul_lo_u32 v5, v5, s27
	v_mul_lo_u32 v6, v6, s24
	s_delay_alu instid0(VALU_DEP_4) | instskip(NEXT) | instid1(VALU_DEP_4)
	v_mul_lo_u32 v7, v7, s17
	v_mul_lo_u32 v8, v8, s14
	s_delay_alu instid0(VALU_DEP_4) | instskip(NEXT) | instid1(VALU_DEP_4)
	v_sub_nc_u32_e32 v5, v1, v5
	v_sub_nc_u32_e32 v6, v2, v6
	s_delay_alu instid0(VALU_DEP_4) | instskip(NEXT) | instid1(VALU_DEP_4)
	v_sub_nc_u32_e32 v7, v3, v7
	v_sub_nc_u32_e32 v8, v0, v8
	v_mul_lo_u32 v1, v1, s6
	v_mul_lo_u32 v5, v5, s22
	;; [unrolled: 1-line block ×5, first 2 shown]
	s_clause 0x1
	s_load_b256 s[8:15], s[0:1], 0xb8
	s_load_b64 s[0:1], s[0:1], 0x10
	v_mul_lo_u32 v2, v2, s5
	s_delay_alu instid0(VALU_DEP_3) | instskip(NEXT) | instid1(VALU_DEP_3)
	v_add3_u32 v5, v6, v5, v7
	v_ashrrev_i32_e32 v6, 31, v8
	s_delay_alu instid0(VALU_DEP_2) | instskip(SKIP_1) | instid1(VALU_DEP_2)
	v_ashrrev_i32_e32 v7, 31, v5
	v_add_co_u32 v5, vcc_lo, v8, v5
	v_add_co_ci_u32_e32 v6, vcc_lo, v6, v7, vcc_lo
	s_delay_alu instid0(VALU_DEP_1) | instskip(SKIP_1) | instid1(VALU_DEP_1)
	v_lshlrev_b64 v[5:6], 2, v[5:6]
	s_waitcnt lgkmcnt(0)
	v_add_co_u32 v7, vcc_lo, s8, v5
	s_delay_alu instid0(VALU_DEP_2)
	v_add_co_ci_u32_e32 v8, vcc_lo, s9, v6, vcc_lo
	v_add_co_u32 v9, vcc_lo, s10, v5
	v_add_co_ci_u32_e32 v10, vcc_lo, s11, v6, vcc_lo
	global_load_b32 v11, v[7:8], off
	v_add_co_u32 v7, vcc_lo, s12, v5
	v_add_co_ci_u32_e32 v8, vcc_lo, s13, v6, vcc_lo
	global_load_b32 v9, v[9:10], off
	;; [unrolled: 3-line block ×3, first 2 shown]
	global_load_b32 v5, v[5:6], off
	v_mul_lo_u32 v6, v3, s4
	v_mov_b32_e32 v3, 0
	s_delay_alu instid0(VALU_DEP_2) | instskip(NEXT) | instid1(VALU_DEP_2)
	v_add3_u32 v2, v2, v1, v6
	v_mov_b32_e32 v1, v3
	s_delay_alu instid0(VALU_DEP_2) | instskip(NEXT) | instid1(VALU_DEP_2)
	v_lshlrev_b64 v[2:3], 1, v[2:3]
	v_lshlrev_b64 v[0:1], 1, v[0:1]
	s_delay_alu instid0(VALU_DEP_2) | instskip(NEXT) | instid1(VALU_DEP_3)
	v_add_co_u32 v2, vcc_lo, s0, v2
	v_add_co_ci_u32_e32 v3, vcc_lo, s1, v3, vcc_lo
	s_delay_alu instid0(VALU_DEP_2) | instskip(NEXT) | instid1(VALU_DEP_2)
	v_add_co_u32 v0, vcc_lo, v2, v0
	v_add_co_ci_u32_e32 v1, vcc_lo, v3, v1, vcc_lo
	s_waitcnt vmcnt(3)
	v_mul_f32_e32 v4, v4, v11
	s_waitcnt vmcnt(2)
	s_delay_alu instid0(VALU_DEP_1) | instskip(SKIP_1) | instid1(VALU_DEP_1)
	v_mul_f32_e32 v4, v4, v9
	s_waitcnt vmcnt(1)
	v_mul_f32_e32 v4, v4, v7
	s_waitcnt vmcnt(0)
	s_delay_alu instid0(VALU_DEP_1)
	v_fma_mixlo_f16 v4, v4, v5, 0
	global_store_b16 v[0:1], v4, off
.LBB116_5:
	s_nop 0
	s_sendmsg sendmsg(MSG_DEALLOC_VGPRS)
	s_endpgm
	.section	.rodata,"a",@progbits
	.p2align	6, 0x0
	.amdhsa_kernel _ZL19k_bin_bcast_unravelIXadL_ZL6op_mulffEE6__halffS0_JPKfS2_S2_S2_EEvPKT0_PKT1_PT2_15HIP_vector_typeIjLj3EESC_SC_jSC_SC_SC_SC_SC_SC_iiiiiiiiiiiDpT3_
		.amdhsa_group_segment_fixed_size 0
		.amdhsa_private_segment_fixed_size 0
		.amdhsa_kernarg_size 472
		.amdhsa_user_sgpr_count 15
		.amdhsa_user_sgpr_dispatch_ptr 0
		.amdhsa_user_sgpr_queue_ptr 0
		.amdhsa_user_sgpr_kernarg_segment_ptr 1
		.amdhsa_user_sgpr_dispatch_id 0
		.amdhsa_user_sgpr_private_segment_size 0
		.amdhsa_wavefront_size32 1
		.amdhsa_uses_dynamic_stack 0
		.amdhsa_enable_private_segment 0
		.amdhsa_system_sgpr_workgroup_id_x 1
		.amdhsa_system_sgpr_workgroup_id_y 0
		.amdhsa_system_sgpr_workgroup_id_z 0
		.amdhsa_system_sgpr_workgroup_info 0
		.amdhsa_system_vgpr_workitem_id 0
		.amdhsa_next_free_vgpr 12
		.amdhsa_next_free_sgpr 28
		.amdhsa_reserve_vcc 1
		.amdhsa_float_round_mode_32 0
		.amdhsa_float_round_mode_16_64 0
		.amdhsa_float_denorm_mode_32 3
		.amdhsa_float_denorm_mode_16_64 3
		.amdhsa_dx10_clamp 1
		.amdhsa_ieee_mode 1
		.amdhsa_fp16_overflow 0
		.amdhsa_workgroup_processor_mode 1
		.amdhsa_memory_ordered 1
		.amdhsa_forward_progress 0
		.amdhsa_shared_vgpr_count 0
		.amdhsa_exception_fp_ieee_invalid_op 0
		.amdhsa_exception_fp_denorm_src 0
		.amdhsa_exception_fp_ieee_div_zero 0
		.amdhsa_exception_fp_ieee_overflow 0
		.amdhsa_exception_fp_ieee_underflow 0
		.amdhsa_exception_fp_ieee_inexact 0
		.amdhsa_exception_int_div_zero 0
	.end_amdhsa_kernel
	.section	.text._ZL19k_bin_bcast_unravelIXadL_ZL6op_mulffEE6__halffS0_JPKfS2_S2_S2_EEvPKT0_PKT1_PT2_15HIP_vector_typeIjLj3EESC_SC_jSC_SC_SC_SC_SC_SC_iiiiiiiiiiiDpT3_,"axG",@progbits,_ZL19k_bin_bcast_unravelIXadL_ZL6op_mulffEE6__halffS0_JPKfS2_S2_S2_EEvPKT0_PKT1_PT2_15HIP_vector_typeIjLj3EESC_SC_jSC_SC_SC_SC_SC_SC_iiiiiiiiiiiDpT3_,comdat
.Lfunc_end116:
	.size	_ZL19k_bin_bcast_unravelIXadL_ZL6op_mulffEE6__halffS0_JPKfS2_S2_S2_EEvPKT0_PKT1_PT2_15HIP_vector_typeIjLj3EESC_SC_jSC_SC_SC_SC_SC_SC_iiiiiiiiiiiDpT3_, .Lfunc_end116-_ZL19k_bin_bcast_unravelIXadL_ZL6op_mulffEE6__halffS0_JPKfS2_S2_S2_EEvPKT0_PKT1_PT2_15HIP_vector_typeIjLj3EESC_SC_jSC_SC_SC_SC_SC_SC_iiiiiiiiiiiDpT3_
                                        ; -- End function
	.section	.AMDGPU.csdata,"",@progbits
; Kernel info:
; codeLenInByte = 912
; NumSgprs: 30
; NumVgprs: 12
; ScratchSize: 0
; MemoryBound: 0
; FloatMode: 240
; IeeeMode: 1
; LDSByteSize: 0 bytes/workgroup (compile time only)
; SGPRBlocks: 3
; VGPRBlocks: 1
; NumSGPRsForWavesPerEU: 30
; NumVGPRsForWavesPerEU: 12
; Occupancy: 16
; WaveLimiterHint : 1
; COMPUTE_PGM_RSRC2:SCRATCH_EN: 0
; COMPUTE_PGM_RSRC2:USER_SGPR: 15
; COMPUTE_PGM_RSRC2:TRAP_HANDLER: 0
; COMPUTE_PGM_RSRC2:TGID_X_EN: 1
; COMPUTE_PGM_RSRC2:TGID_Y_EN: 0
; COMPUTE_PGM_RSRC2:TGID_Z_EN: 0
; COMPUTE_PGM_RSRC2:TIDIG_COMP_CNT: 0
	.section	.text._ZL11k_bin_bcastIXadL_ZL6op_mulffEE6__halffS0_JPKfS2_S2_S2_EEvPKT0_PKT1_PT2_iii15HIP_vector_typeIjLj3EESC_SC_SC_SC_iiiiiiiiiiiDpT3_,"axG",@progbits,_ZL11k_bin_bcastIXadL_ZL6op_mulffEE6__halffS0_JPKfS2_S2_S2_EEvPKT0_PKT1_PT2_iii15HIP_vector_typeIjLj3EESC_SC_SC_SC_iiiiiiiiiiiDpT3_,comdat
	.globl	_ZL11k_bin_bcastIXadL_ZL6op_mulffEE6__halffS0_JPKfS2_S2_S2_EEvPKT0_PKT1_PT2_iii15HIP_vector_typeIjLj3EESC_SC_SC_SC_iiiiiiiiiiiDpT3_ ; -- Begin function _ZL11k_bin_bcastIXadL_ZL6op_mulffEE6__halffS0_JPKfS2_S2_S2_EEvPKT0_PKT1_PT2_iii15HIP_vector_typeIjLj3EESC_SC_SC_SC_iiiiiiiiiiiDpT3_
	.p2align	8
	.type	_ZL11k_bin_bcastIXadL_ZL6op_mulffEE6__halffS0_JPKfS2_S2_S2_EEvPKT0_PKT1_PT2_iii15HIP_vector_typeIjLj3EESC_SC_SC_SC_iiiiiiiiiiiDpT3_,@function
_ZL11k_bin_bcastIXadL_ZL6op_mulffEE6__halffS0_JPKfS2_S2_S2_EEvPKT0_PKT1_PT2_iii15HIP_vector_typeIjLj3EESC_SC_SC_SC_iiiiiiiiiiiDpT3_: ; @_ZL11k_bin_bcastIXadL_ZL6op_mulffEE6__halffS0_JPKfS2_S2_S2_EEvPKT0_PKT1_PT2_iii15HIP_vector_typeIjLj3EESC_SC_SC_SC_iiiiiiiiiiiDpT3_
; %bb.0:
	s_clause 0x1
	s_load_b64 s[2:3], s[0:1], 0xbc
	s_load_b256 s[16:23], s[0:1], 0x18
	v_bfe_u32 v1, v0, 20, 10
	s_add_u32 s34, s0, 0xb0
	s_addc_u32 s35, s1, 0
	s_waitcnt lgkmcnt(0)
	s_and_b32 s3, s3, 0xffff
	s_delay_alu instid0(SALU_CYCLE_1) | instskip(SKIP_3) | instid1(VALU_DEP_3)
	v_mad_u64_u32 v[4:5], null, s15, s3, v[1:2]
	v_and_b32_e32 v2, 0x3ff, v0
	v_bfe_u32 v5, v0, 10, 10
	s_lshr_b32 s3, s2, 16
	v_mul_hi_u32 v1, v4, s19
	s_and_b32 s19, s2, 0xffff
	s_delay_alu instid0(VALU_DEP_1) | instskip(NEXT) | instid1(VALU_DEP_1)
	v_add_nc_u32_e32 v1, v4, v1
	v_lshrrev_b32_e32 v3, s20, v1
	s_delay_alu instid0(VALU_DEP_1) | instskip(SKIP_1) | instid1(VALU_DEP_2)
	v_mul_lo_u32 v6, v3, s21
	v_mad_u64_u32 v[0:1], null, s13, s19, v[2:3]
	v_mad_u64_u32 v[1:2], null, s14, s3, v[5:6]
	v_sub_nc_u32_e32 v4, v4, v6
	s_delay_alu instid0(VALU_DEP_3) | instskip(SKIP_1) | instid1(VALU_DEP_3)
	v_cmp_gt_u32_e32 vcc_lo, s16, v0
	v_cmp_gt_u32_e64 s3, s18, v3
	v_cmp_gt_u32_e64 s4, s21, v4
	;; [unrolled: 1-line block ×3, first 2 shown]
	s_delay_alu instid0(VALU_DEP_1)
	s_and_b32 s2, vcc_lo, s2
	s_delay_alu instid0(VALU_DEP_3) | instid1(SALU_CYCLE_1)
	s_and_b32 s2, s2, s3
	s_delay_alu instid0(VALU_DEP_2) | instid1(SALU_CYCLE_1)
	s_and_b32 s2, s2, s4
	s_delay_alu instid0(SALU_CYCLE_1)
	s_and_saveexec_b32 s3, s2
	s_cbranch_execz .LBB117_6
; %bb.1:
	v_cmp_gt_i32_e32 vcc_lo, s16, v0
	s_and_b32 exec_lo, exec_lo, vcc_lo
	s_cbranch_execz .LBB117_6
; %bb.2:
	s_clause 0x2
	s_load_b256 s[24:31], s[0:1], 0x3c
	s_load_b256 s[4:11], s[0:1], 0x60
	s_load_b128 s[12:15], s[0:1], 0x80
	s_waitcnt lgkmcnt(0)
	s_load_b32 s15, s[34:35], 0x0
	s_clause 0x1
	s_load_b32 s17, s[0:1], 0x5c
	s_load_b64 s[2:3], s[0:1], 0x0
	v_mul_hi_u32 v2, s24, v1
	v_mul_hi_u32 v5, s27, v3
	;; [unrolled: 1-line block ×3, first 2 shown]
	v_mul_lo_u32 v9, v4, s10
	v_mul_lo_u32 v10, v3, s9
	v_mul_lo_u32 v11, v1, s8
	v_mov_b32_e32 v6, 0
	v_mul_lo_u32 v12, v4, s6
	v_add_nc_u32_e32 v2, v1, v2
	v_add_nc_u32_e32 v5, v3, v5
	s_delay_alu instid0(VALU_DEP_4) | instskip(SKIP_1) | instid1(VALU_DEP_4)
	v_dual_mov_b32 v8, v6 :: v_dual_add_nc_u32 v7, v4, v7
	v_mul_lo_u32 v13, v3, s5
	v_lshrrev_b32_e32 v2, s25, v2
	s_delay_alu instid0(VALU_DEP_4) | instskip(NEXT) | instid1(VALU_DEP_4)
	v_lshrrev_b32_e32 v15, s28, v5
	v_lshrrev_b32_e32 v16, s31, v7
	v_mul_lo_u32 v14, v1, s4
	s_clause 0x1
	s_load_b32 s6, s[0:1], 0x38
	s_load_b64 s[4:5], s[0:1], 0x10
	v_add3_u32 v5, v10, v11, v9
	v_mul_lo_u32 v9, v2, s26
	v_mul_lo_u32 v10, v15, s29
	s_waitcnt lgkmcnt(0)
	v_mul_lo_u32 v11, v16, s17
	s_load_b256 s[24:31], s[0:1], 0x90
	v_lshlrev_b64 v[5:6], 1, v[5:6]
	v_add3_u32 v7, v13, v14, v12
	s_cmp_lg_u64 s[2:3], 0
	v_mul_lo_u32 v2, s7, v0
	v_sub_nc_u32_e32 v1, v1, v9
	v_sub_nc_u32_e32 v3, v3, v10
	;; [unrolled: 1-line block ×3, first 2 shown]
	v_add_co_u32 v9, vcc_lo, s2, v5
	v_add_co_ci_u32_e32 v5, vcc_lo, s3, v6, vcc_lo
	v_lshlrev_b64 v[7:8], 1, v[7:8]
	s_delay_alu instid0(VALU_DEP_4)
	v_mul_lo_u32 v10, v4, s14
	v_mul_lo_u32 v3, v3, s13
	;; [unrolled: 1-line block ×3, first 2 shown]
	s_cselect_b32 vcc_lo, -1, 0
	s_mul_i32 s2, s15, s19
	v_cndmask_b32_e32 v5, 0, v5, vcc_lo
	v_cndmask_b32_e32 v4, 0, v9, vcc_lo
	v_add_co_u32 v6, vcc_lo, s4, v7
	v_add_co_ci_u32_e32 v7, vcc_lo, s5, v8, vcc_lo
	s_delay_alu instid0(VALU_DEP_3)
	v_cmp_ne_u64_e32 vcc_lo, 0, v[4:5]
	v_add3_u32 v8, v3, v10, v1
	s_mov_b32 s3, 0
	s_mul_i32 s4, s2, s7
	s_sub_i32 s5, 0, s6
	s_branch .LBB117_4
.LBB117_3:                              ;   in Loop: Header=BB117_4 Depth=1
	s_or_b32 exec_lo, exec_lo, s1
	v_mul_hi_u32 v3, s22, v0
	v_add_nc_u32_e32 v2, s4, v2
	s_delay_alu instid0(VALU_DEP_2) | instskip(NEXT) | instid1(VALU_DEP_1)
	v_add_nc_u32_e32 v3, v0, v3
	v_lshrrev_b32_e32 v3, s23, v3
	s_delay_alu instid0(VALU_DEP_1) | instskip(NEXT) | instid1(VALU_DEP_1)
	v_mad_u64_u32 v[9:10], null, s5, v3, v[0:1]
	v_mul_lo_u32 v3, v9, s11
	s_delay_alu instid0(VALU_DEP_1) | instskip(NEXT) | instid1(VALU_DEP_1)
	v_add_co_u32 v9, s0, v3, v8
	v_add_co_ci_u32_e64 v10, null, 0, 0, s0
	s_delay_alu instid0(VALU_DEP_1) | instskip(SKIP_1) | instid1(VALU_DEP_1)
	v_lshlrev_b64 v[9:10], 2, v[9:10]
	s_waitcnt lgkmcnt(0)
	v_add_co_u32 v11, s0, s24, v9
	s_delay_alu instid0(VALU_DEP_1) | instskip(SKIP_1) | instid1(VALU_DEP_1)
	v_add_co_ci_u32_e64 v12, s0, s25, v10, s0
	v_add_co_u32 v13, s0, s26, v9
	v_add_co_ci_u32_e64 v14, s0, s27, v10, s0
	global_load_b32 v3, v[11:12], off
	v_add_co_u32 v11, s0, s28, v9
	s_delay_alu instid0(VALU_DEP_1) | instskip(SKIP_2) | instid1(VALU_DEP_1)
	v_add_co_ci_u32_e64 v12, s0, s29, v10, s0
	global_load_b32 v13, v[13:14], off
	v_add_co_u32 v9, s0, s30, v9
	v_add_co_ci_u32_e64 v10, s0, s31, v10, s0
	global_load_b32 v11, v[11:12], off
	global_load_b32 v12, v[9:10], off
	s_waitcnt vmcnt(3)
	v_mul_f32_e32 v3, v1, v3
	v_ashrrev_i32_e32 v1, 31, v0
	s_delay_alu instid0(VALU_DEP_1) | instskip(SKIP_1) | instid1(VALU_DEP_3)
	v_lshlrev_b64 v[9:10], 1, v[0:1]
	s_waitcnt vmcnt(2)
	v_dual_mul_f32 v3, v3, v13 :: v_dual_add_nc_u32 v0, s2, v0
	s_delay_alu instid0(VALU_DEP_1) | instskip(SKIP_1) | instid1(VALU_DEP_2)
	v_cmp_le_i32_e64 s0, s16, v0
	s_waitcnt vmcnt(1)
	v_mul_f32_e32 v1, v3, v11
	v_add_co_u32 v9, s1, v6, v9
	s_delay_alu instid0(VALU_DEP_1) | instskip(SKIP_1) | instid1(VALU_DEP_3)
	v_add_co_ci_u32_e64 v10, s1, v7, v10, s1
	s_waitcnt vmcnt(0)
	v_fma_mixlo_f16 v1, v1, v12, 0
	s_or_b32 s3, s0, s3
	global_store_b16 v[9:10], v1, off
	s_and_not1_b32 exec_lo, exec_lo, s3
	s_cbranch_execz .LBB117_6
.LBB117_4:                              ; =>This Inner Loop Header: Depth=1
	v_mov_b32_e32 v1, 0
	s_and_saveexec_b32 s1, vcc_lo
	s_cbranch_execz .LBB117_3
; %bb.5:                                ;   in Loop: Header=BB117_4 Depth=1
	v_ashrrev_i32_e32 v3, 31, v2
	s_delay_alu instid0(VALU_DEP_1) | instskip(NEXT) | instid1(VALU_DEP_1)
	v_lshlrev_b64 v[9:10], 1, v[2:3]
	v_add_co_u32 v9, s0, v4, v9
	s_delay_alu instid0(VALU_DEP_1)
	v_add_co_ci_u32_e64 v10, s0, v5, v10, s0
	global_load_u16 v1, v[9:10], off
	s_waitcnt vmcnt(0)
	v_cvt_f32_f16_e32 v1, v1
	s_branch .LBB117_3
.LBB117_6:
	s_nop 0
	s_sendmsg sendmsg(MSG_DEALLOC_VGPRS)
	s_endpgm
	.section	.rodata,"a",@progbits
	.p2align	6, 0x0
	.amdhsa_kernel _ZL11k_bin_bcastIXadL_ZL6op_mulffEE6__halffS0_JPKfS2_S2_S2_EEvPKT0_PKT1_PT2_iii15HIP_vector_typeIjLj3EESC_SC_SC_SC_iiiiiiiiiiiDpT3_
		.amdhsa_group_segment_fixed_size 0
		.amdhsa_private_segment_fixed_size 0
		.amdhsa_kernarg_size 432
		.amdhsa_user_sgpr_count 13
		.amdhsa_user_sgpr_dispatch_ptr 0
		.amdhsa_user_sgpr_queue_ptr 0
		.amdhsa_user_sgpr_kernarg_segment_ptr 1
		.amdhsa_user_sgpr_dispatch_id 0
		.amdhsa_user_sgpr_private_segment_size 0
		.amdhsa_wavefront_size32 1
		.amdhsa_uses_dynamic_stack 0
		.amdhsa_enable_private_segment 0
		.amdhsa_system_sgpr_workgroup_id_x 1
		.amdhsa_system_sgpr_workgroup_id_y 1
		.amdhsa_system_sgpr_workgroup_id_z 1
		.amdhsa_system_sgpr_workgroup_info 0
		.amdhsa_system_vgpr_workitem_id 2
		.amdhsa_next_free_vgpr 17
		.amdhsa_next_free_sgpr 36
		.amdhsa_reserve_vcc 1
		.amdhsa_float_round_mode_32 0
		.amdhsa_float_round_mode_16_64 0
		.amdhsa_float_denorm_mode_32 3
		.amdhsa_float_denorm_mode_16_64 3
		.amdhsa_dx10_clamp 1
		.amdhsa_ieee_mode 1
		.amdhsa_fp16_overflow 0
		.amdhsa_workgroup_processor_mode 1
		.amdhsa_memory_ordered 1
		.amdhsa_forward_progress 0
		.amdhsa_shared_vgpr_count 0
		.amdhsa_exception_fp_ieee_invalid_op 0
		.amdhsa_exception_fp_denorm_src 0
		.amdhsa_exception_fp_ieee_div_zero 0
		.amdhsa_exception_fp_ieee_overflow 0
		.amdhsa_exception_fp_ieee_underflow 0
		.amdhsa_exception_fp_ieee_inexact 0
		.amdhsa_exception_int_div_zero 0
	.end_amdhsa_kernel
	.section	.text._ZL11k_bin_bcastIXadL_ZL6op_mulffEE6__halffS0_JPKfS2_S2_S2_EEvPKT0_PKT1_PT2_iii15HIP_vector_typeIjLj3EESC_SC_SC_SC_iiiiiiiiiiiDpT3_,"axG",@progbits,_ZL11k_bin_bcastIXadL_ZL6op_mulffEE6__halffS0_JPKfS2_S2_S2_EEvPKT0_PKT1_PT2_iii15HIP_vector_typeIjLj3EESC_SC_SC_SC_iiiiiiiiiiiDpT3_,comdat
.Lfunc_end117:
	.size	_ZL11k_bin_bcastIXadL_ZL6op_mulffEE6__halffS0_JPKfS2_S2_S2_EEvPKT0_PKT1_PT2_iii15HIP_vector_typeIjLj3EESC_SC_SC_SC_iiiiiiiiiiiDpT3_, .Lfunc_end117-_ZL11k_bin_bcastIXadL_ZL6op_mulffEE6__halffS0_JPKfS2_S2_S2_EEvPKT0_PKT1_PT2_iii15HIP_vector_typeIjLj3EESC_SC_SC_SC_iiiiiiiiiiiDpT3_
                                        ; -- End function
	.section	.AMDGPU.csdata,"",@progbits
; Kernel info:
; codeLenInByte = 984
; NumSgprs: 38
; NumVgprs: 17
; ScratchSize: 0
; MemoryBound: 0
; FloatMode: 240
; IeeeMode: 1
; LDSByteSize: 0 bytes/workgroup (compile time only)
; SGPRBlocks: 4
; VGPRBlocks: 2
; NumSGPRsForWavesPerEU: 38
; NumVGPRsForWavesPerEU: 17
; Occupancy: 16
; WaveLimiterHint : 1
; COMPUTE_PGM_RSRC2:SCRATCH_EN: 0
; COMPUTE_PGM_RSRC2:USER_SGPR: 13
; COMPUTE_PGM_RSRC2:TRAP_HANDLER: 0
; COMPUTE_PGM_RSRC2:TGID_X_EN: 1
; COMPUTE_PGM_RSRC2:TGID_Y_EN: 1
; COMPUTE_PGM_RSRC2:TGID_Z_EN: 1
; COMPUTE_PGM_RSRC2:TIDIG_COMP_CNT: 2
	.section	.text._ZL19k_bin_bcast_unravelIXadL_ZL6op_mulffEE6__halfffJPKfS2_S2_S2_EEvPKT0_PKT1_PT2_15HIP_vector_typeIjLj3EESC_SC_jSC_SC_SC_SC_SC_SC_iiiiiiiiiiiDpT3_,"axG",@progbits,_ZL19k_bin_bcast_unravelIXadL_ZL6op_mulffEE6__halfffJPKfS2_S2_S2_EEvPKT0_PKT1_PT2_15HIP_vector_typeIjLj3EESC_SC_jSC_SC_SC_SC_SC_SC_iiiiiiiiiiiDpT3_,comdat
	.globl	_ZL19k_bin_bcast_unravelIXadL_ZL6op_mulffEE6__halfffJPKfS2_S2_S2_EEvPKT0_PKT1_PT2_15HIP_vector_typeIjLj3EESC_SC_jSC_SC_SC_SC_SC_SC_iiiiiiiiiiiDpT3_ ; -- Begin function _ZL19k_bin_bcast_unravelIXadL_ZL6op_mulffEE6__halfffJPKfS2_S2_S2_EEvPKT0_PKT1_PT2_15HIP_vector_typeIjLj3EESC_SC_jSC_SC_SC_SC_SC_SC_iiiiiiiiiiiDpT3_
	.p2align	8
	.type	_ZL19k_bin_bcast_unravelIXadL_ZL6op_mulffEE6__halfffJPKfS2_S2_S2_EEvPKT0_PKT1_PT2_15HIP_vector_typeIjLj3EESC_SC_jSC_SC_SC_SC_SC_SC_iiiiiiiiiiiDpT3_,@function
_ZL19k_bin_bcast_unravelIXadL_ZL6op_mulffEE6__halfffJPKfS2_S2_S2_EEvPKT0_PKT1_PT2_15HIP_vector_typeIjLj3EESC_SC_jSC_SC_SC_SC_SC_SC_iiiiiiiiiiiDpT3_: ; @_ZL19k_bin_bcast_unravelIXadL_ZL6op_mulffEE6__halfffJPKfS2_S2_S2_EEvPKT0_PKT1_PT2_15HIP_vector_typeIjLj3EESC_SC_jSC_SC_SC_SC_SC_SC_iiiiiiiiiiiDpT3_
; %bb.0:
	s_clause 0x1
	s_load_b32 s2, s[0:1], 0xe4
	s_load_b256 s[4:11], s[0:1], 0x38
	s_waitcnt lgkmcnt(0)
	s_and_b32 s2, s2, 0xffff
	s_delay_alu instid0(SALU_CYCLE_1) | instskip(SKIP_3) | instid1(VALU_DEP_1)
	v_mad_u64_u32 v[2:3], null, s15, s2, v[0:1]
	s_clause 0x1
	s_load_b128 s[12:15], s[0:1], 0x18
	s_load_b32 s2, s[0:1], 0x2c
	v_mul_hi_u32 v0, v2, s6
	s_delay_alu instid0(VALU_DEP_1) | instskip(NEXT) | instid1(VALU_DEP_1)
	v_add_nc_u32_e32 v0, v2, v0
	v_lshrrev_b32_e32 v1, s7, v0
	s_delay_alu instid0(VALU_DEP_1) | instskip(NEXT) | instid1(VALU_DEP_1)
	v_mul_lo_u32 v0, v1, s8
	v_sub_nc_u32_e32 v0, v2, v0
	s_delay_alu instid0(VALU_DEP_1) | instskip(NEXT) | instid1(VALU_DEP_1)
	v_mul_hi_u32 v2, v0, s9
	v_add_nc_u32_e32 v2, v0, v2
	s_delay_alu instid0(VALU_DEP_1) | instskip(NEXT) | instid1(VALU_DEP_1)
	v_lshrrev_b32_e32 v2, s10, v2
	v_mul_lo_u32 v3, v2, s11
	v_cmp_gt_u32_e64 s3, s4, v2
	v_cmp_gt_u32_e64 s4, s5, v1
	s_delay_alu instid0(VALU_DEP_3) | instskip(SKIP_1) | instid1(VALU_DEP_1)
	v_sub_nc_u32_e32 v0, v0, v3
	s_waitcnt lgkmcnt(0)
	v_mul_hi_u32 v3, v0, s12
	s_delay_alu instid0(VALU_DEP_1) | instskip(NEXT) | instid1(VALU_DEP_1)
	v_add_nc_u32_e32 v3, v0, v3
	v_lshrrev_b32_e32 v3, s13, v3
	s_delay_alu instid0(VALU_DEP_1) | instskip(SKIP_1) | instid1(VALU_DEP_2)
	v_mul_lo_u32 v4, v3, s14
	v_cmp_gt_u32_e64 s2, s2, v3
	v_sub_nc_u32_e32 v0, v0, v4
	s_delay_alu instid0(VALU_DEP_1) | instskip(NEXT) | instid1(VALU_DEP_3)
	v_cmp_gt_u32_e32 vcc_lo, s14, v0
	s_and_b32 s2, vcc_lo, s2
	s_delay_alu instid0(SALU_CYCLE_1) | instskip(NEXT) | instid1(SALU_CYCLE_1)
	s_and_b32 s2, s2, s3
	s_and_b32 s2, s4, s2
	s_delay_alu instid0(SALU_CYCLE_1)
	s_and_saveexec_b32 s3, s2
	s_cbranch_execz .LBB118_5
; %bb.1:
	s_clause 0x4
	s_load_b64 s[2:3], s[0:1], 0x0
	s_load_b128 s[20:23], s[0:1], 0xa8
	s_load_b256 s[4:11], s[0:1], 0x88
	s_load_b128 s[24:27], s[0:1], 0x78
	s_load_b256 s[12:19], s[0:1], 0x58
	s_waitcnt lgkmcnt(0)
	s_cmp_eq_u64 s[2:3], 0
	s_cbranch_scc1 .LBB118_3
; %bb.2:
	v_mul_lo_u32 v4, v1, s10
	v_mul_lo_u32 v6, v2, s9
	;; [unrolled: 1-line block ×3, first 2 shown]
	v_mov_b32_e32 v5, 0
	s_delay_alu instid0(VALU_DEP_2) | instskip(NEXT) | instid1(VALU_DEP_1)
	v_add3_u32 v4, v6, v4, v7
	v_lshlrev_b64 v[6:7], 1, v[4:5]
	v_mul_lo_u32 v4, v0, s7
	s_delay_alu instid0(VALU_DEP_2) | instskip(NEXT) | instid1(VALU_DEP_3)
	v_add_co_u32 v6, vcc_lo, s2, v6
	v_add_co_ci_u32_e32 v7, vcc_lo, s3, v7, vcc_lo
	s_delay_alu instid0(VALU_DEP_3) | instskip(NEXT) | instid1(VALU_DEP_1)
	v_lshlrev_b64 v[4:5], 1, v[4:5]
	v_add_co_u32 v4, vcc_lo, v6, v4
	s_delay_alu instid0(VALU_DEP_2)
	v_add_co_ci_u32_e32 v5, vcc_lo, v7, v5, vcc_lo
	global_load_u16 v4, v[4:5], off
	s_waitcnt vmcnt(0)
	v_cvt_f32_f16_e32 v4, v4
	s_branch .LBB118_4
.LBB118_3:
	v_mov_b32_e32 v4, 0
.LBB118_4:
	v_mul_hi_u32 v5, s25, v1
	v_mul_hi_u32 v6, s18, v2
	;; [unrolled: 1-line block ×4, first 2 shown]
	s_delay_alu instid0(VALU_DEP_4) | instskip(NEXT) | instid1(VALU_DEP_4)
	v_add_nc_u32_e32 v5, v1, v5
	v_add_nc_u32_e32 v6, v2, v6
	s_delay_alu instid0(VALU_DEP_4) | instskip(NEXT) | instid1(VALU_DEP_4)
	v_add_nc_u32_e32 v7, v3, v7
	v_add_nc_u32_e32 v8, v0, v8
	s_delay_alu instid0(VALU_DEP_4) | instskip(NEXT) | instid1(VALU_DEP_4)
	v_lshrrev_b32_e32 v5, s26, v5
	v_lshrrev_b32_e32 v6, s19, v6
	s_delay_alu instid0(VALU_DEP_4) | instskip(NEXT) | instid1(VALU_DEP_4)
	v_lshrrev_b32_e32 v7, s16, v7
	v_lshrrev_b32_e32 v8, s13, v8
	s_delay_alu instid0(VALU_DEP_4) | instskip(NEXT) | instid1(VALU_DEP_4)
	v_mul_lo_u32 v5, v5, s27
	v_mul_lo_u32 v6, v6, s24
	s_delay_alu instid0(VALU_DEP_4) | instskip(NEXT) | instid1(VALU_DEP_4)
	v_mul_lo_u32 v7, v7, s17
	v_mul_lo_u32 v8, v8, s14
	s_delay_alu instid0(VALU_DEP_4) | instskip(NEXT) | instid1(VALU_DEP_4)
	v_sub_nc_u32_e32 v5, v1, v5
	v_sub_nc_u32_e32 v6, v2, v6
	s_delay_alu instid0(VALU_DEP_4) | instskip(NEXT) | instid1(VALU_DEP_4)
	v_sub_nc_u32_e32 v7, v3, v7
	v_sub_nc_u32_e32 v8, v0, v8
	v_mul_lo_u32 v1, v1, s6
	v_mul_lo_u32 v5, v5, s22
	;; [unrolled: 1-line block ×5, first 2 shown]
	s_clause 0x1
	s_load_b256 s[8:15], s[0:1], 0xb8
	s_load_b64 s[0:1], s[0:1], 0x10
	v_mul_lo_u32 v2, v2, s5
	s_delay_alu instid0(VALU_DEP_3) | instskip(NEXT) | instid1(VALU_DEP_3)
	v_add3_u32 v5, v6, v5, v7
	v_ashrrev_i32_e32 v6, 31, v8
	s_delay_alu instid0(VALU_DEP_2) | instskip(SKIP_1) | instid1(VALU_DEP_2)
	v_ashrrev_i32_e32 v7, 31, v5
	v_add_co_u32 v5, vcc_lo, v8, v5
	v_add_co_ci_u32_e32 v6, vcc_lo, v6, v7, vcc_lo
	s_delay_alu instid0(VALU_DEP_1) | instskip(SKIP_1) | instid1(VALU_DEP_1)
	v_lshlrev_b64 v[5:6], 2, v[5:6]
	s_waitcnt lgkmcnt(0)
	v_add_co_u32 v7, vcc_lo, s8, v5
	s_delay_alu instid0(VALU_DEP_2)
	v_add_co_ci_u32_e32 v8, vcc_lo, s9, v6, vcc_lo
	v_add_co_u32 v9, vcc_lo, s10, v5
	v_add_co_ci_u32_e32 v10, vcc_lo, s11, v6, vcc_lo
	global_load_b32 v11, v[7:8], off
	v_add_co_u32 v7, vcc_lo, s12, v5
	v_add_co_ci_u32_e32 v8, vcc_lo, s13, v6, vcc_lo
	global_load_b32 v9, v[9:10], off
	;; [unrolled: 3-line block ×3, first 2 shown]
	global_load_b32 v5, v[5:6], off
	v_mul_lo_u32 v6, v3, s4
	v_mov_b32_e32 v3, 0
	s_delay_alu instid0(VALU_DEP_2) | instskip(NEXT) | instid1(VALU_DEP_2)
	v_add3_u32 v2, v2, v1, v6
	v_mov_b32_e32 v1, v3
	s_delay_alu instid0(VALU_DEP_2) | instskip(NEXT) | instid1(VALU_DEP_2)
	v_lshlrev_b64 v[2:3], 2, v[2:3]
	v_lshlrev_b64 v[0:1], 2, v[0:1]
	s_delay_alu instid0(VALU_DEP_2) | instskip(NEXT) | instid1(VALU_DEP_3)
	v_add_co_u32 v2, vcc_lo, s0, v2
	v_add_co_ci_u32_e32 v3, vcc_lo, s1, v3, vcc_lo
	s_delay_alu instid0(VALU_DEP_2) | instskip(NEXT) | instid1(VALU_DEP_2)
	v_add_co_u32 v0, vcc_lo, v2, v0
	v_add_co_ci_u32_e32 v1, vcc_lo, v3, v1, vcc_lo
	s_waitcnt vmcnt(3)
	v_mul_f32_e32 v4, v4, v11
	s_waitcnt vmcnt(2)
	s_delay_alu instid0(VALU_DEP_1) | instskip(SKIP_1) | instid1(VALU_DEP_1)
	v_mul_f32_e32 v4, v4, v9
	s_waitcnt vmcnt(1)
	v_mul_f32_e32 v4, v4, v7
	s_waitcnt vmcnt(0)
	s_delay_alu instid0(VALU_DEP_1)
	v_mul_f32_e32 v4, v4, v5
	global_store_b32 v[0:1], v4, off
.LBB118_5:
	s_nop 0
	s_sendmsg sendmsg(MSG_DEALLOC_VGPRS)
	s_endpgm
	.section	.rodata,"a",@progbits
	.p2align	6, 0x0
	.amdhsa_kernel _ZL19k_bin_bcast_unravelIXadL_ZL6op_mulffEE6__halfffJPKfS2_S2_S2_EEvPKT0_PKT1_PT2_15HIP_vector_typeIjLj3EESC_SC_jSC_SC_SC_SC_SC_SC_iiiiiiiiiiiDpT3_
		.amdhsa_group_segment_fixed_size 0
		.amdhsa_private_segment_fixed_size 0
		.amdhsa_kernarg_size 472
		.amdhsa_user_sgpr_count 15
		.amdhsa_user_sgpr_dispatch_ptr 0
		.amdhsa_user_sgpr_queue_ptr 0
		.amdhsa_user_sgpr_kernarg_segment_ptr 1
		.amdhsa_user_sgpr_dispatch_id 0
		.amdhsa_user_sgpr_private_segment_size 0
		.amdhsa_wavefront_size32 1
		.amdhsa_uses_dynamic_stack 0
		.amdhsa_enable_private_segment 0
		.amdhsa_system_sgpr_workgroup_id_x 1
		.amdhsa_system_sgpr_workgroup_id_y 0
		.amdhsa_system_sgpr_workgroup_id_z 0
		.amdhsa_system_sgpr_workgroup_info 0
		.amdhsa_system_vgpr_workitem_id 0
		.amdhsa_next_free_vgpr 12
		.amdhsa_next_free_sgpr 28
		.amdhsa_reserve_vcc 1
		.amdhsa_float_round_mode_32 0
		.amdhsa_float_round_mode_16_64 0
		.amdhsa_float_denorm_mode_32 3
		.amdhsa_float_denorm_mode_16_64 3
		.amdhsa_dx10_clamp 1
		.amdhsa_ieee_mode 1
		.amdhsa_fp16_overflow 0
		.amdhsa_workgroup_processor_mode 1
		.amdhsa_memory_ordered 1
		.amdhsa_forward_progress 0
		.amdhsa_shared_vgpr_count 0
		.amdhsa_exception_fp_ieee_invalid_op 0
		.amdhsa_exception_fp_denorm_src 0
		.amdhsa_exception_fp_ieee_div_zero 0
		.amdhsa_exception_fp_ieee_overflow 0
		.amdhsa_exception_fp_ieee_underflow 0
		.amdhsa_exception_fp_ieee_inexact 0
		.amdhsa_exception_int_div_zero 0
	.end_amdhsa_kernel
	.section	.text._ZL19k_bin_bcast_unravelIXadL_ZL6op_mulffEE6__halfffJPKfS2_S2_S2_EEvPKT0_PKT1_PT2_15HIP_vector_typeIjLj3EESC_SC_jSC_SC_SC_SC_SC_SC_iiiiiiiiiiiDpT3_,"axG",@progbits,_ZL19k_bin_bcast_unravelIXadL_ZL6op_mulffEE6__halfffJPKfS2_S2_S2_EEvPKT0_PKT1_PT2_15HIP_vector_typeIjLj3EESC_SC_jSC_SC_SC_SC_SC_SC_iiiiiiiiiiiDpT3_,comdat
.Lfunc_end118:
	.size	_ZL19k_bin_bcast_unravelIXadL_ZL6op_mulffEE6__halfffJPKfS2_S2_S2_EEvPKT0_PKT1_PT2_15HIP_vector_typeIjLj3EESC_SC_jSC_SC_SC_SC_SC_SC_iiiiiiiiiiiDpT3_, .Lfunc_end118-_ZL19k_bin_bcast_unravelIXadL_ZL6op_mulffEE6__halfffJPKfS2_S2_S2_EEvPKT0_PKT1_PT2_15HIP_vector_typeIjLj3EESC_SC_jSC_SC_SC_SC_SC_SC_iiiiiiiiiiiDpT3_
                                        ; -- End function
	.section	.AMDGPU.csdata,"",@progbits
; Kernel info:
; codeLenInByte = 908
; NumSgprs: 30
; NumVgprs: 12
; ScratchSize: 0
; MemoryBound: 0
; FloatMode: 240
; IeeeMode: 1
; LDSByteSize: 0 bytes/workgroup (compile time only)
; SGPRBlocks: 3
; VGPRBlocks: 1
; NumSGPRsForWavesPerEU: 30
; NumVGPRsForWavesPerEU: 12
; Occupancy: 16
; WaveLimiterHint : 1
; COMPUTE_PGM_RSRC2:SCRATCH_EN: 0
; COMPUTE_PGM_RSRC2:USER_SGPR: 15
; COMPUTE_PGM_RSRC2:TRAP_HANDLER: 0
; COMPUTE_PGM_RSRC2:TGID_X_EN: 1
; COMPUTE_PGM_RSRC2:TGID_Y_EN: 0
; COMPUTE_PGM_RSRC2:TGID_Z_EN: 0
; COMPUTE_PGM_RSRC2:TIDIG_COMP_CNT: 0
	.section	.text._ZL11k_bin_bcastIXadL_ZL6op_mulffEE6__halfffJPKfS2_S2_S2_EEvPKT0_PKT1_PT2_iii15HIP_vector_typeIjLj3EESC_SC_SC_SC_iiiiiiiiiiiDpT3_,"axG",@progbits,_ZL11k_bin_bcastIXadL_ZL6op_mulffEE6__halfffJPKfS2_S2_S2_EEvPKT0_PKT1_PT2_iii15HIP_vector_typeIjLj3EESC_SC_SC_SC_iiiiiiiiiiiDpT3_,comdat
	.globl	_ZL11k_bin_bcastIXadL_ZL6op_mulffEE6__halfffJPKfS2_S2_S2_EEvPKT0_PKT1_PT2_iii15HIP_vector_typeIjLj3EESC_SC_SC_SC_iiiiiiiiiiiDpT3_ ; -- Begin function _ZL11k_bin_bcastIXadL_ZL6op_mulffEE6__halfffJPKfS2_S2_S2_EEvPKT0_PKT1_PT2_iii15HIP_vector_typeIjLj3EESC_SC_SC_SC_iiiiiiiiiiiDpT3_
	.p2align	8
	.type	_ZL11k_bin_bcastIXadL_ZL6op_mulffEE6__halfffJPKfS2_S2_S2_EEvPKT0_PKT1_PT2_iii15HIP_vector_typeIjLj3EESC_SC_SC_SC_iiiiiiiiiiiDpT3_,@function
_ZL11k_bin_bcastIXadL_ZL6op_mulffEE6__halfffJPKfS2_S2_S2_EEvPKT0_PKT1_PT2_iii15HIP_vector_typeIjLj3EESC_SC_SC_SC_iiiiiiiiiiiDpT3_: ; @_ZL11k_bin_bcastIXadL_ZL6op_mulffEE6__halfffJPKfS2_S2_S2_EEvPKT0_PKT1_PT2_iii15HIP_vector_typeIjLj3EESC_SC_SC_SC_iiiiiiiiiiiDpT3_
; %bb.0:
	s_clause 0x1
	s_load_b64 s[2:3], s[0:1], 0xbc
	s_load_b256 s[16:23], s[0:1], 0x18
	v_bfe_u32 v1, v0, 20, 10
	s_add_u32 s34, s0, 0xb0
	s_addc_u32 s35, s1, 0
	s_waitcnt lgkmcnt(0)
	s_and_b32 s3, s3, 0xffff
	s_delay_alu instid0(SALU_CYCLE_1) | instskip(SKIP_3) | instid1(VALU_DEP_3)
	v_mad_u64_u32 v[4:5], null, s15, s3, v[1:2]
	v_and_b32_e32 v2, 0x3ff, v0
	v_bfe_u32 v5, v0, 10, 10
	s_lshr_b32 s3, s2, 16
	v_mul_hi_u32 v1, v4, s19
	s_and_b32 s19, s2, 0xffff
	s_delay_alu instid0(VALU_DEP_1) | instskip(NEXT) | instid1(VALU_DEP_1)
	v_add_nc_u32_e32 v1, v4, v1
	v_lshrrev_b32_e32 v3, s20, v1
	s_delay_alu instid0(VALU_DEP_1) | instskip(SKIP_1) | instid1(VALU_DEP_2)
	v_mul_lo_u32 v6, v3, s21
	v_mad_u64_u32 v[0:1], null, s13, s19, v[2:3]
	v_mad_u64_u32 v[1:2], null, s14, s3, v[5:6]
	v_sub_nc_u32_e32 v4, v4, v6
	s_delay_alu instid0(VALU_DEP_3) | instskip(SKIP_1) | instid1(VALU_DEP_3)
	v_cmp_gt_u32_e32 vcc_lo, s16, v0
	v_cmp_gt_u32_e64 s3, s18, v3
	v_cmp_gt_u32_e64 s4, s21, v4
	;; [unrolled: 1-line block ×3, first 2 shown]
	s_delay_alu instid0(VALU_DEP_1)
	s_and_b32 s2, vcc_lo, s2
	s_delay_alu instid0(VALU_DEP_3) | instid1(SALU_CYCLE_1)
	s_and_b32 s2, s2, s3
	s_delay_alu instid0(VALU_DEP_2) | instid1(SALU_CYCLE_1)
	s_and_b32 s2, s2, s4
	s_delay_alu instid0(SALU_CYCLE_1)
	s_and_saveexec_b32 s3, s2
	s_cbranch_execz .LBB119_6
; %bb.1:
	v_cmp_gt_i32_e32 vcc_lo, s16, v0
	s_and_b32 exec_lo, exec_lo, vcc_lo
	s_cbranch_execz .LBB119_6
; %bb.2:
	s_clause 0x2
	s_load_b256 s[24:31], s[0:1], 0x3c
	s_load_b256 s[4:11], s[0:1], 0x60
	s_load_b128 s[12:15], s[0:1], 0x80
	s_waitcnt lgkmcnt(0)
	s_load_b32 s15, s[34:35], 0x0
	s_clause 0x1
	s_load_b32 s17, s[0:1], 0x5c
	s_load_b64 s[2:3], s[0:1], 0x0
	v_mul_hi_u32 v2, s24, v1
	v_mul_hi_u32 v5, s27, v3
	;; [unrolled: 1-line block ×3, first 2 shown]
	v_mul_lo_u32 v9, v4, s10
	v_mul_lo_u32 v10, v3, s9
	;; [unrolled: 1-line block ×3, first 2 shown]
	v_mov_b32_e32 v6, 0
	v_mul_lo_u32 v12, v4, s6
	v_add_nc_u32_e32 v2, v1, v2
	v_add_nc_u32_e32 v5, v3, v5
	s_delay_alu instid0(VALU_DEP_4) | instskip(SKIP_1) | instid1(VALU_DEP_4)
	v_dual_mov_b32 v8, v6 :: v_dual_add_nc_u32 v7, v4, v7
	v_mul_lo_u32 v13, v3, s5
	v_lshrrev_b32_e32 v2, s25, v2
	s_delay_alu instid0(VALU_DEP_4) | instskip(NEXT) | instid1(VALU_DEP_4)
	v_lshrrev_b32_e32 v15, s28, v5
	v_lshrrev_b32_e32 v16, s31, v7
	v_mul_lo_u32 v14, v1, s4
	s_clause 0x1
	s_load_b32 s6, s[0:1], 0x38
	s_load_b64 s[4:5], s[0:1], 0x10
	v_add3_u32 v5, v10, v11, v9
	v_mul_lo_u32 v9, v2, s26
	v_mul_lo_u32 v10, v15, s29
	s_waitcnt lgkmcnt(0)
	v_mul_lo_u32 v11, v16, s17
	s_load_b256 s[24:31], s[0:1], 0x90
	v_lshlrev_b64 v[5:6], 1, v[5:6]
	v_add3_u32 v7, v13, v14, v12
	s_cmp_lg_u64 s[2:3], 0
	v_mul_lo_u32 v2, s7, v0
	v_sub_nc_u32_e32 v1, v1, v9
	v_sub_nc_u32_e32 v3, v3, v10
	;; [unrolled: 1-line block ×3, first 2 shown]
	v_add_co_u32 v9, vcc_lo, s2, v5
	v_add_co_ci_u32_e32 v5, vcc_lo, s3, v6, vcc_lo
	v_lshlrev_b64 v[7:8], 2, v[7:8]
	s_delay_alu instid0(VALU_DEP_4)
	v_mul_lo_u32 v10, v4, s14
	v_mul_lo_u32 v3, v3, s13
	;; [unrolled: 1-line block ×3, first 2 shown]
	s_cselect_b32 vcc_lo, -1, 0
	s_mul_i32 s2, s15, s19
	v_cndmask_b32_e32 v5, 0, v5, vcc_lo
	v_cndmask_b32_e32 v4, 0, v9, vcc_lo
	v_add_co_u32 v6, vcc_lo, s4, v7
	v_add_co_ci_u32_e32 v7, vcc_lo, s5, v8, vcc_lo
	s_delay_alu instid0(VALU_DEP_3)
	v_cmp_ne_u64_e32 vcc_lo, 0, v[4:5]
	v_add3_u32 v8, v3, v10, v1
	s_mov_b32 s3, 0
	s_mul_i32 s4, s2, s7
	s_sub_i32 s5, 0, s6
	s_branch .LBB119_4
.LBB119_3:                              ;   in Loop: Header=BB119_4 Depth=1
	s_or_b32 exec_lo, exec_lo, s1
	v_mul_hi_u32 v3, s22, v0
	v_add_nc_u32_e32 v2, s4, v2
	s_delay_alu instid0(VALU_DEP_2) | instskip(NEXT) | instid1(VALU_DEP_1)
	v_add_nc_u32_e32 v3, v0, v3
	v_lshrrev_b32_e32 v3, s23, v3
	s_delay_alu instid0(VALU_DEP_1) | instskip(NEXT) | instid1(VALU_DEP_1)
	v_mad_u64_u32 v[9:10], null, s5, v3, v[0:1]
	v_mul_lo_u32 v3, v9, s11
	s_delay_alu instid0(VALU_DEP_1) | instskip(NEXT) | instid1(VALU_DEP_1)
	v_add_co_u32 v9, s0, v3, v8
	v_add_co_ci_u32_e64 v10, null, 0, 0, s0
	s_delay_alu instid0(VALU_DEP_1) | instskip(SKIP_1) | instid1(VALU_DEP_1)
	v_lshlrev_b64 v[9:10], 2, v[9:10]
	s_waitcnt lgkmcnt(0)
	v_add_co_u32 v11, s0, s24, v9
	s_delay_alu instid0(VALU_DEP_1) | instskip(SKIP_1) | instid1(VALU_DEP_1)
	v_add_co_ci_u32_e64 v12, s0, s25, v10, s0
	v_add_co_u32 v13, s0, s26, v9
	v_add_co_ci_u32_e64 v14, s0, s27, v10, s0
	global_load_b32 v3, v[11:12], off
	v_add_co_u32 v11, s0, s28, v9
	s_delay_alu instid0(VALU_DEP_1) | instskip(SKIP_2) | instid1(VALU_DEP_1)
	v_add_co_ci_u32_e64 v12, s0, s29, v10, s0
	global_load_b32 v13, v[13:14], off
	v_add_co_u32 v9, s0, s30, v9
	v_add_co_ci_u32_e64 v10, s0, s31, v10, s0
	global_load_b32 v11, v[11:12], off
	global_load_b32 v12, v[9:10], off
	s_waitcnt vmcnt(3)
	v_mul_f32_e32 v3, v1, v3
	v_ashrrev_i32_e32 v1, 31, v0
	s_delay_alu instid0(VALU_DEP_1) | instskip(SKIP_1) | instid1(VALU_DEP_3)
	v_lshlrev_b64 v[9:10], 2, v[0:1]
	s_waitcnt vmcnt(2)
	v_dual_mul_f32 v3, v3, v13 :: v_dual_add_nc_u32 v0, s2, v0
	s_delay_alu instid0(VALU_DEP_1) | instskip(SKIP_1) | instid1(VALU_DEP_2)
	v_cmp_le_i32_e64 s0, s16, v0
	s_waitcnt vmcnt(1)
	v_mul_f32_e32 v1, v3, v11
	v_add_co_u32 v9, s1, v6, v9
	s_delay_alu instid0(VALU_DEP_1) | instskip(SKIP_1) | instid1(VALU_DEP_3)
	v_add_co_ci_u32_e64 v10, s1, v7, v10, s1
	s_waitcnt vmcnt(0)
	v_mul_f32_e32 v1, v1, v12
	s_or_b32 s3, s0, s3
	global_store_b32 v[9:10], v1, off
	s_and_not1_b32 exec_lo, exec_lo, s3
	s_cbranch_execz .LBB119_6
.LBB119_4:                              ; =>This Inner Loop Header: Depth=1
	v_mov_b32_e32 v1, 0
	s_and_saveexec_b32 s1, vcc_lo
	s_cbranch_execz .LBB119_3
; %bb.5:                                ;   in Loop: Header=BB119_4 Depth=1
	v_ashrrev_i32_e32 v3, 31, v2
	s_delay_alu instid0(VALU_DEP_1) | instskip(NEXT) | instid1(VALU_DEP_1)
	v_lshlrev_b64 v[9:10], 1, v[2:3]
	v_add_co_u32 v9, s0, v4, v9
	s_delay_alu instid0(VALU_DEP_1)
	v_add_co_ci_u32_e64 v10, s0, v5, v10, s0
	global_load_u16 v1, v[9:10], off
	s_waitcnt vmcnt(0)
	v_cvt_f32_f16_e32 v1, v1
	s_branch .LBB119_3
.LBB119_6:
	s_nop 0
	s_sendmsg sendmsg(MSG_DEALLOC_VGPRS)
	s_endpgm
	.section	.rodata,"a",@progbits
	.p2align	6, 0x0
	.amdhsa_kernel _ZL11k_bin_bcastIXadL_ZL6op_mulffEE6__halfffJPKfS2_S2_S2_EEvPKT0_PKT1_PT2_iii15HIP_vector_typeIjLj3EESC_SC_SC_SC_iiiiiiiiiiiDpT3_
		.amdhsa_group_segment_fixed_size 0
		.amdhsa_private_segment_fixed_size 0
		.amdhsa_kernarg_size 432
		.amdhsa_user_sgpr_count 13
		.amdhsa_user_sgpr_dispatch_ptr 0
		.amdhsa_user_sgpr_queue_ptr 0
		.amdhsa_user_sgpr_kernarg_segment_ptr 1
		.amdhsa_user_sgpr_dispatch_id 0
		.amdhsa_user_sgpr_private_segment_size 0
		.amdhsa_wavefront_size32 1
		.amdhsa_uses_dynamic_stack 0
		.amdhsa_enable_private_segment 0
		.amdhsa_system_sgpr_workgroup_id_x 1
		.amdhsa_system_sgpr_workgroup_id_y 1
		.amdhsa_system_sgpr_workgroup_id_z 1
		.amdhsa_system_sgpr_workgroup_info 0
		.amdhsa_system_vgpr_workitem_id 2
		.amdhsa_next_free_vgpr 17
		.amdhsa_next_free_sgpr 36
		.amdhsa_reserve_vcc 1
		.amdhsa_float_round_mode_32 0
		.amdhsa_float_round_mode_16_64 0
		.amdhsa_float_denorm_mode_32 3
		.amdhsa_float_denorm_mode_16_64 3
		.amdhsa_dx10_clamp 1
		.amdhsa_ieee_mode 1
		.amdhsa_fp16_overflow 0
		.amdhsa_workgroup_processor_mode 1
		.amdhsa_memory_ordered 1
		.amdhsa_forward_progress 0
		.amdhsa_shared_vgpr_count 0
		.amdhsa_exception_fp_ieee_invalid_op 0
		.amdhsa_exception_fp_denorm_src 0
		.amdhsa_exception_fp_ieee_div_zero 0
		.amdhsa_exception_fp_ieee_overflow 0
		.amdhsa_exception_fp_ieee_underflow 0
		.amdhsa_exception_fp_ieee_inexact 0
		.amdhsa_exception_int_div_zero 0
	.end_amdhsa_kernel
	.section	.text._ZL11k_bin_bcastIXadL_ZL6op_mulffEE6__halfffJPKfS2_S2_S2_EEvPKT0_PKT1_PT2_iii15HIP_vector_typeIjLj3EESC_SC_SC_SC_iiiiiiiiiiiDpT3_,"axG",@progbits,_ZL11k_bin_bcastIXadL_ZL6op_mulffEE6__halfffJPKfS2_S2_S2_EEvPKT0_PKT1_PT2_iii15HIP_vector_typeIjLj3EESC_SC_SC_SC_iiiiiiiiiiiDpT3_,comdat
.Lfunc_end119:
	.size	_ZL11k_bin_bcastIXadL_ZL6op_mulffEE6__halfffJPKfS2_S2_S2_EEvPKT0_PKT1_PT2_iii15HIP_vector_typeIjLj3EESC_SC_SC_SC_iiiiiiiiiiiDpT3_, .Lfunc_end119-_ZL11k_bin_bcastIXadL_ZL6op_mulffEE6__halfffJPKfS2_S2_S2_EEvPKT0_PKT1_PT2_iii15HIP_vector_typeIjLj3EESC_SC_SC_SC_iiiiiiiiiiiDpT3_
                                        ; -- End function
	.section	.AMDGPU.csdata,"",@progbits
; Kernel info:
; codeLenInByte = 980
; NumSgprs: 38
; NumVgprs: 17
; ScratchSize: 0
; MemoryBound: 0
; FloatMode: 240
; IeeeMode: 1
; LDSByteSize: 0 bytes/workgroup (compile time only)
; SGPRBlocks: 4
; VGPRBlocks: 2
; NumSGPRsForWavesPerEU: 38
; NumVGPRsForWavesPerEU: 17
; Occupancy: 16
; WaveLimiterHint : 1
; COMPUTE_PGM_RSRC2:SCRATCH_EN: 0
; COMPUTE_PGM_RSRC2:USER_SGPR: 13
; COMPUTE_PGM_RSRC2:TRAP_HANDLER: 0
; COMPUTE_PGM_RSRC2:TGID_X_EN: 1
; COMPUTE_PGM_RSRC2:TGID_Y_EN: 1
; COMPUTE_PGM_RSRC2:TGID_Z_EN: 1
; COMPUTE_PGM_RSRC2:TIDIG_COMP_CNT: 2
	.section	.text._ZL19k_bin_bcast_unravelIXadL_ZL6op_mulffEEfffJPKfS1_S1_S1_S1_EEvPKT0_PKT1_PT2_15HIP_vector_typeIjLj3EESB_SB_jSB_SB_SB_SB_SB_SB_iiiiiiiiiiiDpT3_,"axG",@progbits,_ZL19k_bin_bcast_unravelIXadL_ZL6op_mulffEEfffJPKfS1_S1_S1_S1_EEvPKT0_PKT1_PT2_15HIP_vector_typeIjLj3EESB_SB_jSB_SB_SB_SB_SB_SB_iiiiiiiiiiiDpT3_,comdat
	.globl	_ZL19k_bin_bcast_unravelIXadL_ZL6op_mulffEEfffJPKfS1_S1_S1_S1_EEvPKT0_PKT1_PT2_15HIP_vector_typeIjLj3EESB_SB_jSB_SB_SB_SB_SB_SB_iiiiiiiiiiiDpT3_ ; -- Begin function _ZL19k_bin_bcast_unravelIXadL_ZL6op_mulffEEfffJPKfS1_S1_S1_S1_EEvPKT0_PKT1_PT2_15HIP_vector_typeIjLj3EESB_SB_jSB_SB_SB_SB_SB_SB_iiiiiiiiiiiDpT3_
	.p2align	8
	.type	_ZL19k_bin_bcast_unravelIXadL_ZL6op_mulffEEfffJPKfS1_S1_S1_S1_EEvPKT0_PKT1_PT2_15HIP_vector_typeIjLj3EESB_SB_jSB_SB_SB_SB_SB_SB_iiiiiiiiiiiDpT3_,@function
_ZL19k_bin_bcast_unravelIXadL_ZL6op_mulffEEfffJPKfS1_S1_S1_S1_EEvPKT0_PKT1_PT2_15HIP_vector_typeIjLj3EESB_SB_jSB_SB_SB_SB_SB_SB_iiiiiiiiiiiDpT3_: ; @_ZL19k_bin_bcast_unravelIXadL_ZL6op_mulffEEfffJPKfS1_S1_S1_S1_EEvPKT0_PKT1_PT2_15HIP_vector_typeIjLj3EESB_SB_jSB_SB_SB_SB_SB_SB_iiiiiiiiiiiDpT3_
; %bb.0:
	s_clause 0x1
	s_load_b32 s2, s[0:1], 0xec
	s_load_b256 s[4:11], s[0:1], 0x38
	s_waitcnt lgkmcnt(0)
	s_and_b32 s2, s2, 0xffff
	s_delay_alu instid0(SALU_CYCLE_1) | instskip(SKIP_3) | instid1(VALU_DEP_1)
	v_mad_u64_u32 v[2:3], null, s15, s2, v[0:1]
	s_clause 0x1
	s_load_b128 s[12:15], s[0:1], 0x18
	s_load_b32 s2, s[0:1], 0x2c
	v_mul_hi_u32 v0, v2, s6
	s_delay_alu instid0(VALU_DEP_1) | instskip(NEXT) | instid1(VALU_DEP_1)
	v_add_nc_u32_e32 v0, v2, v0
	v_lshrrev_b32_e32 v1, s7, v0
	s_delay_alu instid0(VALU_DEP_1) | instskip(NEXT) | instid1(VALU_DEP_1)
	v_mul_lo_u32 v0, v1, s8
	v_sub_nc_u32_e32 v0, v2, v0
	s_delay_alu instid0(VALU_DEP_1) | instskip(NEXT) | instid1(VALU_DEP_1)
	v_mul_hi_u32 v2, v0, s9
	v_add_nc_u32_e32 v2, v0, v2
	s_delay_alu instid0(VALU_DEP_1) | instskip(NEXT) | instid1(VALU_DEP_1)
	v_lshrrev_b32_e32 v2, s10, v2
	v_mul_lo_u32 v3, v2, s11
	v_cmp_gt_u32_e64 s3, s4, v2
	v_cmp_gt_u32_e64 s4, s5, v1
	s_delay_alu instid0(VALU_DEP_3) | instskip(SKIP_1) | instid1(VALU_DEP_1)
	v_sub_nc_u32_e32 v0, v0, v3
	s_waitcnt lgkmcnt(0)
	v_mul_hi_u32 v3, v0, s12
	s_delay_alu instid0(VALU_DEP_1) | instskip(NEXT) | instid1(VALU_DEP_1)
	v_add_nc_u32_e32 v3, v0, v3
	v_lshrrev_b32_e32 v3, s13, v3
	s_delay_alu instid0(VALU_DEP_1) | instskip(SKIP_1) | instid1(VALU_DEP_2)
	v_mul_lo_u32 v4, v3, s14
	v_cmp_gt_u32_e64 s2, s2, v3
	v_sub_nc_u32_e32 v0, v0, v4
	s_delay_alu instid0(VALU_DEP_1) | instskip(NEXT) | instid1(VALU_DEP_3)
	v_cmp_gt_u32_e32 vcc_lo, s14, v0
	s_and_b32 s2, vcc_lo, s2
	s_delay_alu instid0(SALU_CYCLE_1) | instskip(NEXT) | instid1(SALU_CYCLE_1)
	s_and_b32 s2, s2, s3
	s_and_b32 s2, s4, s2
	s_delay_alu instid0(SALU_CYCLE_1)
	s_and_saveexec_b32 s3, s2
	s_cbranch_execz .LBB120_5
; %bb.1:
	s_clause 0x4
	s_load_b64 s[2:3], s[0:1], 0x0
	s_load_b128 s[20:23], s[0:1], 0xa8
	s_load_b256 s[4:11], s[0:1], 0x88
	s_load_b128 s[24:27], s[0:1], 0x78
	s_load_b256 s[12:19], s[0:1], 0x58
	s_waitcnt lgkmcnt(0)
	s_cmp_eq_u64 s[2:3], 0
	s_cbranch_scc1 .LBB120_3
; %bb.2:
	v_mul_lo_u32 v4, v1, s10
	v_mul_lo_u32 v6, v2, s9
	;; [unrolled: 1-line block ×3, first 2 shown]
	v_mov_b32_e32 v5, 0
	s_delay_alu instid0(VALU_DEP_2) | instskip(NEXT) | instid1(VALU_DEP_1)
	v_add3_u32 v4, v6, v4, v7
	v_lshlrev_b64 v[6:7], 2, v[4:5]
	v_mul_lo_u32 v4, v0, s7
	s_delay_alu instid0(VALU_DEP_2) | instskip(NEXT) | instid1(VALU_DEP_3)
	v_add_co_u32 v6, vcc_lo, s2, v6
	v_add_co_ci_u32_e32 v7, vcc_lo, s3, v7, vcc_lo
	s_delay_alu instid0(VALU_DEP_3) | instskip(NEXT) | instid1(VALU_DEP_1)
	v_lshlrev_b64 v[4:5], 2, v[4:5]
	v_add_co_u32 v4, vcc_lo, v6, v4
	s_delay_alu instid0(VALU_DEP_2)
	v_add_co_ci_u32_e32 v5, vcc_lo, v7, v5, vcc_lo
	global_load_b32 v4, v[4:5], off
	s_branch .LBB120_4
.LBB120_3:
	v_mov_b32_e32 v4, 0
.LBB120_4:
	v_mul_hi_u32 v5, s25, v1
	v_mul_hi_u32 v6, s18, v2
	;; [unrolled: 1-line block ×4, first 2 shown]
	s_load_b64 s[2:3], s[0:1], 0xd8
	s_delay_alu instid0(VALU_DEP_4) | instskip(NEXT) | instid1(VALU_DEP_4)
	v_add_nc_u32_e32 v5, v1, v5
	v_add_nc_u32_e32 v6, v2, v6
	s_delay_alu instid0(VALU_DEP_4) | instskip(NEXT) | instid1(VALU_DEP_4)
	v_add_nc_u32_e32 v7, v3, v7
	v_add_nc_u32_e32 v8, v0, v8
	s_delay_alu instid0(VALU_DEP_4) | instskip(NEXT) | instid1(VALU_DEP_4)
	v_lshrrev_b32_e32 v5, s26, v5
	v_lshrrev_b32_e32 v6, s19, v6
	s_delay_alu instid0(VALU_DEP_4) | instskip(NEXT) | instid1(VALU_DEP_4)
	v_lshrrev_b32_e32 v7, s16, v7
	v_lshrrev_b32_e32 v8, s13, v8
	s_delay_alu instid0(VALU_DEP_4) | instskip(NEXT) | instid1(VALU_DEP_4)
	v_mul_lo_u32 v5, v5, s27
	v_mul_lo_u32 v6, v6, s24
	s_delay_alu instid0(VALU_DEP_4) | instskip(NEXT) | instid1(VALU_DEP_4)
	v_mul_lo_u32 v7, v7, s17
	v_mul_lo_u32 v8, v8, s14
	s_delay_alu instid0(VALU_DEP_4) | instskip(NEXT) | instid1(VALU_DEP_4)
	v_sub_nc_u32_e32 v5, v1, v5
	v_sub_nc_u32_e32 v6, v2, v6
	s_delay_alu instid0(VALU_DEP_4) | instskip(NEXT) | instid1(VALU_DEP_4)
	v_sub_nc_u32_e32 v7, v3, v7
	v_sub_nc_u32_e32 v8, v0, v8
	v_mul_lo_u32 v1, v1, s6
	v_mul_lo_u32 v5, v5, s22
	v_mul_lo_u32 v6, v6, s21
	v_mul_lo_u32 v7, v7, s20
	v_mul_lo_u32 v8, v8, s11
	s_clause 0x1
	s_load_b256 s[8:15], s[0:1], 0xb8
	s_load_b64 s[0:1], s[0:1], 0x10
	v_mul_lo_u32 v2, v2, s5
	s_delay_alu instid0(VALU_DEP_3) | instskip(NEXT) | instid1(VALU_DEP_3)
	v_add3_u32 v5, v6, v5, v7
	v_ashrrev_i32_e32 v6, 31, v8
	s_delay_alu instid0(VALU_DEP_2) | instskip(SKIP_1) | instid1(VALU_DEP_2)
	v_ashrrev_i32_e32 v7, 31, v5
	v_add_co_u32 v5, vcc_lo, v8, v5
	v_add_co_ci_u32_e32 v6, vcc_lo, v6, v7, vcc_lo
	s_delay_alu instid0(VALU_DEP_1) | instskip(SKIP_1) | instid1(VALU_DEP_1)
	v_lshlrev_b64 v[5:6], 2, v[5:6]
	s_waitcnt lgkmcnt(0)
	v_add_co_u32 v7, vcc_lo, s8, v5
	s_delay_alu instid0(VALU_DEP_2)
	v_add_co_ci_u32_e32 v8, vcc_lo, s9, v6, vcc_lo
	v_add_co_u32 v9, vcc_lo, s10, v5
	v_add_co_ci_u32_e32 v10, vcc_lo, s11, v6, vcc_lo
	global_load_b32 v11, v[7:8], off
	v_add_co_u32 v7, vcc_lo, s12, v5
	v_add_co_ci_u32_e32 v8, vcc_lo, s13, v6, vcc_lo
	global_load_b32 v12, v[9:10], off
	;; [unrolled: 3-line block ×4, first 2 shown]
	global_load_b32 v5, v[5:6], off
	v_mul_lo_u32 v6, v3, s4
	v_mov_b32_e32 v3, 0
	s_delay_alu instid0(VALU_DEP_2) | instskip(NEXT) | instid1(VALU_DEP_2)
	v_add3_u32 v2, v2, v1, v6
	v_mov_b32_e32 v1, v3
	s_delay_alu instid0(VALU_DEP_2) | instskip(NEXT) | instid1(VALU_DEP_2)
	v_lshlrev_b64 v[2:3], 2, v[2:3]
	v_lshlrev_b64 v[0:1], 2, v[0:1]
	s_delay_alu instid0(VALU_DEP_2) | instskip(NEXT) | instid1(VALU_DEP_3)
	v_add_co_u32 v2, vcc_lo, s0, v2
	v_add_co_ci_u32_e32 v3, vcc_lo, s1, v3, vcc_lo
	s_delay_alu instid0(VALU_DEP_2) | instskip(NEXT) | instid1(VALU_DEP_2)
	v_add_co_u32 v0, vcc_lo, v2, v0
	v_add_co_ci_u32_e32 v1, vcc_lo, v3, v1, vcc_lo
	s_waitcnt vmcnt(4)
	v_mul_f32_e32 v4, v4, v11
	s_waitcnt vmcnt(3)
	s_delay_alu instid0(VALU_DEP_1) | instskip(SKIP_1) | instid1(VALU_DEP_1)
	v_mul_f32_e32 v4, v4, v12
	s_waitcnt vmcnt(2)
	v_mul_f32_e32 v4, v4, v7
	s_waitcnt vmcnt(1)
	s_delay_alu instid0(VALU_DEP_1) | instskip(SKIP_1) | instid1(VALU_DEP_1)
	v_mul_f32_e32 v4, v4, v8
	s_waitcnt vmcnt(0)
	v_mul_f32_e32 v4, v4, v5
	global_store_b32 v[0:1], v4, off
.LBB120_5:
	s_nop 0
	s_sendmsg sendmsg(MSG_DEALLOC_VGPRS)
	s_endpgm
	.section	.rodata,"a",@progbits
	.p2align	6, 0x0
	.amdhsa_kernel _ZL19k_bin_bcast_unravelIXadL_ZL6op_mulffEEfffJPKfS1_S1_S1_S1_EEvPKT0_PKT1_PT2_15HIP_vector_typeIjLj3EESB_SB_jSB_SB_SB_SB_SB_SB_iiiiiiiiiiiDpT3_
		.amdhsa_group_segment_fixed_size 0
		.amdhsa_private_segment_fixed_size 0
		.amdhsa_kernarg_size 480
		.amdhsa_user_sgpr_count 15
		.amdhsa_user_sgpr_dispatch_ptr 0
		.amdhsa_user_sgpr_queue_ptr 0
		.amdhsa_user_sgpr_kernarg_segment_ptr 1
		.amdhsa_user_sgpr_dispatch_id 0
		.amdhsa_user_sgpr_private_segment_size 0
		.amdhsa_wavefront_size32 1
		.amdhsa_uses_dynamic_stack 0
		.amdhsa_enable_private_segment 0
		.amdhsa_system_sgpr_workgroup_id_x 1
		.amdhsa_system_sgpr_workgroup_id_y 0
		.amdhsa_system_sgpr_workgroup_id_z 0
		.amdhsa_system_sgpr_workgroup_info 0
		.amdhsa_system_vgpr_workitem_id 0
		.amdhsa_next_free_vgpr 13
		.amdhsa_next_free_sgpr 28
		.amdhsa_reserve_vcc 1
		.amdhsa_float_round_mode_32 0
		.amdhsa_float_round_mode_16_64 0
		.amdhsa_float_denorm_mode_32 3
		.amdhsa_float_denorm_mode_16_64 3
		.amdhsa_dx10_clamp 1
		.amdhsa_ieee_mode 1
		.amdhsa_fp16_overflow 0
		.amdhsa_workgroup_processor_mode 1
		.amdhsa_memory_ordered 1
		.amdhsa_forward_progress 0
		.amdhsa_shared_vgpr_count 0
		.amdhsa_exception_fp_ieee_invalid_op 0
		.amdhsa_exception_fp_denorm_src 0
		.amdhsa_exception_fp_ieee_div_zero 0
		.amdhsa_exception_fp_ieee_overflow 0
		.amdhsa_exception_fp_ieee_underflow 0
		.amdhsa_exception_fp_ieee_inexact 0
		.amdhsa_exception_int_div_zero 0
	.end_amdhsa_kernel
	.section	.text._ZL19k_bin_bcast_unravelIXadL_ZL6op_mulffEEfffJPKfS1_S1_S1_S1_EEvPKT0_PKT1_PT2_15HIP_vector_typeIjLj3EESB_SB_jSB_SB_SB_SB_SB_SB_iiiiiiiiiiiDpT3_,"axG",@progbits,_ZL19k_bin_bcast_unravelIXadL_ZL6op_mulffEEfffJPKfS1_S1_S1_S1_EEvPKT0_PKT1_PT2_15HIP_vector_typeIjLj3EESB_SB_jSB_SB_SB_SB_SB_SB_iiiiiiiiiiiDpT3_,comdat
.Lfunc_end120:
	.size	_ZL19k_bin_bcast_unravelIXadL_ZL6op_mulffEEfffJPKfS1_S1_S1_S1_EEvPKT0_PKT1_PT2_15HIP_vector_typeIjLj3EESB_SB_jSB_SB_SB_SB_SB_SB_iiiiiiiiiiiDpT3_, .Lfunc_end120-_ZL19k_bin_bcast_unravelIXadL_ZL6op_mulffEEfffJPKfS1_S1_S1_S1_EEvPKT0_PKT1_PT2_15HIP_vector_typeIjLj3EESB_SB_jSB_SB_SB_SB_SB_SB_iiiiiiiiiiiDpT3_
                                        ; -- End function
	.section	.AMDGPU.csdata,"",@progbits
; Kernel info:
; codeLenInByte = 936
; NumSgprs: 30
; NumVgprs: 13
; ScratchSize: 0
; MemoryBound: 0
; FloatMode: 240
; IeeeMode: 1
; LDSByteSize: 0 bytes/workgroup (compile time only)
; SGPRBlocks: 3
; VGPRBlocks: 1
; NumSGPRsForWavesPerEU: 30
; NumVGPRsForWavesPerEU: 13
; Occupancy: 16
; WaveLimiterHint : 1
; COMPUTE_PGM_RSRC2:SCRATCH_EN: 0
; COMPUTE_PGM_RSRC2:USER_SGPR: 15
; COMPUTE_PGM_RSRC2:TRAP_HANDLER: 0
; COMPUTE_PGM_RSRC2:TGID_X_EN: 1
; COMPUTE_PGM_RSRC2:TGID_Y_EN: 0
; COMPUTE_PGM_RSRC2:TGID_Z_EN: 0
; COMPUTE_PGM_RSRC2:TIDIG_COMP_CNT: 0
	.section	.text._ZL11k_bin_bcastIXadL_ZL6op_mulffEEfffJPKfS1_S1_S1_S1_EEvPKT0_PKT1_PT2_iii15HIP_vector_typeIjLj3EESB_SB_SB_SB_iiiiiiiiiiiDpT3_,"axG",@progbits,_ZL11k_bin_bcastIXadL_ZL6op_mulffEEfffJPKfS1_S1_S1_S1_EEvPKT0_PKT1_PT2_iii15HIP_vector_typeIjLj3EESB_SB_SB_SB_iiiiiiiiiiiDpT3_,comdat
	.globl	_ZL11k_bin_bcastIXadL_ZL6op_mulffEEfffJPKfS1_S1_S1_S1_EEvPKT0_PKT1_PT2_iii15HIP_vector_typeIjLj3EESB_SB_SB_SB_iiiiiiiiiiiDpT3_ ; -- Begin function _ZL11k_bin_bcastIXadL_ZL6op_mulffEEfffJPKfS1_S1_S1_S1_EEvPKT0_PKT1_PT2_iii15HIP_vector_typeIjLj3EESB_SB_SB_SB_iiiiiiiiiiiDpT3_
	.p2align	8
	.type	_ZL11k_bin_bcastIXadL_ZL6op_mulffEEfffJPKfS1_S1_S1_S1_EEvPKT0_PKT1_PT2_iii15HIP_vector_typeIjLj3EESB_SB_SB_SB_iiiiiiiiiiiDpT3_,@function
_ZL11k_bin_bcastIXadL_ZL6op_mulffEEfffJPKfS1_S1_S1_S1_EEvPKT0_PKT1_PT2_iii15HIP_vector_typeIjLj3EESB_SB_SB_SB_iiiiiiiiiiiDpT3_: ; @_ZL11k_bin_bcastIXadL_ZL6op_mulffEEfffJPKfS1_S1_S1_S1_EEvPKT0_PKT1_PT2_iii15HIP_vector_typeIjLj3EESB_SB_SB_SB_iiiiiiiiiiiDpT3_
; %bb.0:
	s_clause 0x1
	s_load_b64 s[2:3], s[0:1], 0xc4
	s_load_b256 s[16:23], s[0:1], 0x18
	v_bfe_u32 v1, v0, 20, 10
	s_add_u32 s34, s0, 0xb8
	s_addc_u32 s35, s1, 0
	s_waitcnt lgkmcnt(0)
	s_and_b32 s3, s3, 0xffff
	s_delay_alu instid0(SALU_CYCLE_1) | instskip(SKIP_3) | instid1(VALU_DEP_3)
	v_mad_u64_u32 v[4:5], null, s15, s3, v[1:2]
	v_and_b32_e32 v2, 0x3ff, v0
	v_bfe_u32 v5, v0, 10, 10
	s_lshr_b32 s3, s2, 16
	v_mul_hi_u32 v1, v4, s19
	s_delay_alu instid0(VALU_DEP_1) | instskip(NEXT) | instid1(VALU_DEP_1)
	v_add_nc_u32_e32 v1, v4, v1
	v_lshrrev_b32_e32 v3, s20, v1
	s_and_b32 s20, s2, 0xffff
	s_delay_alu instid0(VALU_DEP_1) | instskip(SKIP_1) | instid1(VALU_DEP_2)
	v_mul_lo_u32 v6, v3, s21
	v_mad_u64_u32 v[0:1], null, s13, s20, v[2:3]
	v_mad_u64_u32 v[1:2], null, s14, s3, v[5:6]
	v_sub_nc_u32_e32 v4, v4, v6
	s_delay_alu instid0(VALU_DEP_3) | instskip(SKIP_1) | instid1(VALU_DEP_3)
	v_cmp_gt_u32_e32 vcc_lo, s16, v0
	v_cmp_gt_u32_e64 s3, s18, v3
	v_cmp_gt_u32_e64 s4, s21, v4
	;; [unrolled: 1-line block ×3, first 2 shown]
	s_delay_alu instid0(VALU_DEP_1)
	s_and_b32 s2, vcc_lo, s2
	s_delay_alu instid0(VALU_DEP_3) | instid1(SALU_CYCLE_1)
	s_and_b32 s2, s2, s3
	s_delay_alu instid0(VALU_DEP_2) | instid1(SALU_CYCLE_1)
	s_and_b32 s2, s2, s4
	s_delay_alu instid0(SALU_CYCLE_1)
	s_and_saveexec_b32 s3, s2
	s_cbranch_execz .LBB121_6
; %bb.1:
	v_cmp_gt_i32_e32 vcc_lo, s16, v0
	s_and_b32 exec_lo, exec_lo, vcc_lo
	s_cbranch_execz .LBB121_6
; %bb.2:
	s_clause 0x2
	s_load_b256 s[24:31], s[0:1], 0x3c
	s_load_b256 s[4:11], s[0:1], 0x60
	s_load_b128 s[12:15], s[0:1], 0x80
	s_waitcnt lgkmcnt(0)
	s_load_b32 s15, s[34:35], 0x0
	s_clause 0x4
	s_load_b32 s17, s[0:1], 0x5c
	s_load_b64 s[34:35], s[0:1], 0x0
	s_load_b32 s21, s[0:1], 0x38
	s_load_b64 s[18:19], s[0:1], 0x10
	s_load_b64 s[2:3], s[0:1], 0xb0
	v_mul_hi_u32 v2, s24, v1
	v_mul_hi_u32 v5, s27, v3
	;; [unrolled: 1-line block ×3, first 2 shown]
	v_mul_lo_u32 v9, v4, s10
	v_mul_lo_u32 v10, v3, s9
	;; [unrolled: 1-line block ×3, first 2 shown]
	v_mov_b32_e32 v6, 0
	v_mul_lo_u32 v12, v4, s6
	v_add_nc_u32_e32 v2, v1, v2
	v_add_nc_u32_e32 v5, v3, v5
	s_delay_alu instid0(VALU_DEP_4) | instskip(SKIP_1) | instid1(VALU_DEP_4)
	v_dual_mov_b32 v8, v6 :: v_dual_add_nc_u32 v7, v4, v7
	v_mul_lo_u32 v13, v3, s5
	v_lshrrev_b32_e32 v2, s25, v2
	s_delay_alu instid0(VALU_DEP_4) | instskip(NEXT) | instid1(VALU_DEP_4)
	v_lshrrev_b32_e32 v15, s28, v5
	v_lshrrev_b32_e32 v16, s31, v7
	v_add3_u32 v5, v10, v11, v9
	v_mul_lo_u32 v14, v1, s4
	v_mul_lo_u32 v9, v2, s26
	;; [unrolled: 1-line block ×3, first 2 shown]
	s_waitcnt lgkmcnt(0)
	v_mul_lo_u32 v11, v16, s17
	v_lshlrev_b64 v[5:6], 2, v[5:6]
	s_load_b256 s[24:31], s[0:1], 0x90
	s_cmp_lg_u64 s[34:35], 0
	v_mul_lo_u32 v2, s7, v0
	v_add3_u32 v7, v13, v14, v12
	v_sub_nc_u32_e32 v1, v1, v9
	v_sub_nc_u32_e32 v3, v3, v10
	;; [unrolled: 1-line block ×3, first 2 shown]
	v_add_co_u32 v9, vcc_lo, s34, v5
	v_add_co_ci_u32_e32 v5, vcc_lo, s35, v6, vcc_lo
	v_lshlrev_b64 v[7:8], 2, v[7:8]
	s_delay_alu instid0(VALU_DEP_4)
	v_mul_lo_u32 v10, v4, s14
	v_mul_lo_u32 v3, v3, s13
	;; [unrolled: 1-line block ×3, first 2 shown]
	s_cselect_b32 vcc_lo, -1, 0
	s_mul_i32 s4, s15, s20
	v_cndmask_b32_e32 v5, 0, v5, vcc_lo
	v_cndmask_b32_e32 v4, 0, v9, vcc_lo
	v_add_co_u32 v6, vcc_lo, s18, v7
	v_add_co_ci_u32_e32 v7, vcc_lo, s19, v8, vcc_lo
	s_delay_alu instid0(VALU_DEP_3)
	v_cmp_ne_u64_e32 vcc_lo, 0, v[4:5]
	v_add3_u32 v8, v3, v10, v1
	s_mov_b32 s5, 0
	s_mul_i32 s6, s4, s7
	s_sub_i32 s7, 0, s21
	s_branch .LBB121_4
.LBB121_3:                              ;   in Loop: Header=BB121_4 Depth=1
	s_or_b32 exec_lo, exec_lo, s1
	v_mul_hi_u32 v3, s22, v0
	v_add_nc_u32_e32 v2, s6, v2
	s_delay_alu instid0(VALU_DEP_2) | instskip(NEXT) | instid1(VALU_DEP_1)
	v_add_nc_u32_e32 v3, v0, v3
	v_lshrrev_b32_e32 v3, s23, v3
	s_waitcnt vmcnt(0)
	s_delay_alu instid0(VALU_DEP_1) | instskip(NEXT) | instid1(VALU_DEP_1)
	v_mad_u64_u32 v[9:10], null, s7, v3, v[0:1]
	v_mul_lo_u32 v3, v9, s11
	s_delay_alu instid0(VALU_DEP_1) | instskip(NEXT) | instid1(VALU_DEP_1)
	v_add_co_u32 v9, s0, v3, v8
	v_add_co_ci_u32_e64 v10, null, 0, 0, s0
	s_delay_alu instid0(VALU_DEP_1) | instskip(SKIP_1) | instid1(VALU_DEP_1)
	v_lshlrev_b64 v[9:10], 2, v[9:10]
	s_waitcnt lgkmcnt(0)
	v_add_co_u32 v11, s0, s24, v9
	s_delay_alu instid0(VALU_DEP_1) | instskip(SKIP_1) | instid1(VALU_DEP_1)
	v_add_co_ci_u32_e64 v12, s0, s25, v10, s0
	v_add_co_u32 v13, s0, s26, v9
	v_add_co_ci_u32_e64 v14, s0, s27, v10, s0
	global_load_b32 v3, v[11:12], off
	v_add_co_u32 v11, s0, s28, v9
	s_delay_alu instid0(VALU_DEP_1) | instskip(SKIP_2) | instid1(VALU_DEP_1)
	v_add_co_ci_u32_e64 v12, s0, s29, v10, s0
	global_load_b32 v15, v[13:14], off
	v_add_co_u32 v13, s0, s30, v9
	v_add_co_ci_u32_e64 v14, s0, s31, v10, s0
	global_load_b32 v11, v[11:12], off
	v_add_co_u32 v9, s0, s2, v9
	s_delay_alu instid0(VALU_DEP_1)
	v_add_co_ci_u32_e64 v10, s0, s3, v10, s0
	global_load_b32 v12, v[13:14], off
	global_load_b32 v13, v[9:10], off
	s_waitcnt vmcnt(4)
	v_mul_f32_e32 v1, v1, v3
	s_waitcnt vmcnt(3)
	s_delay_alu instid0(VALU_DEP_1) | instskip(SKIP_2) | instid1(VALU_DEP_2)
	v_mul_f32_e32 v3, v1, v15
	v_ashrrev_i32_e32 v1, 31, v0
	s_waitcnt vmcnt(2)
	v_mul_f32_e32 v3, v3, v11
	s_delay_alu instid0(VALU_DEP_2) | instskip(SKIP_2) | instid1(VALU_DEP_3)
	v_lshlrev_b64 v[9:10], 2, v[0:1]
	v_add_nc_u32_e32 v0, s4, v0
	s_waitcnt vmcnt(1)
	v_mul_f32_e32 v1, v3, v12
	s_delay_alu instid0(VALU_DEP_2) | instskip(NEXT) | instid1(VALU_DEP_4)
	v_cmp_le_i32_e64 s0, s16, v0
	v_add_co_u32 v9, s1, v6, v9
	s_delay_alu instid0(VALU_DEP_1)
	v_add_co_ci_u32_e64 v10, s1, v7, v10, s1
	s_waitcnt vmcnt(0)
	v_mul_f32_e32 v1, v1, v13
	s_or_b32 s5, s0, s5
	global_store_b32 v[9:10], v1, off
	s_and_not1_b32 exec_lo, exec_lo, s5
	s_cbranch_execz .LBB121_6
.LBB121_4:                              ; =>This Inner Loop Header: Depth=1
	v_mov_b32_e32 v1, 0
	s_and_saveexec_b32 s1, vcc_lo
	s_cbranch_execz .LBB121_3
; %bb.5:                                ;   in Loop: Header=BB121_4 Depth=1
	v_ashrrev_i32_e32 v3, 31, v2
	s_delay_alu instid0(VALU_DEP_1) | instskip(NEXT) | instid1(VALU_DEP_1)
	v_lshlrev_b64 v[9:10], 2, v[2:3]
	v_add_co_u32 v9, s0, v4, v9
	s_delay_alu instid0(VALU_DEP_1)
	v_add_co_ci_u32_e64 v10, s0, v5, v10, s0
	global_load_b32 v1, v[9:10], off
	s_branch .LBB121_3
.LBB121_6:
	s_nop 0
	s_sendmsg sendmsg(MSG_DEALLOC_VGPRS)
	s_endpgm
	.section	.rodata,"a",@progbits
	.p2align	6, 0x0
	.amdhsa_kernel _ZL11k_bin_bcastIXadL_ZL6op_mulffEEfffJPKfS1_S1_S1_S1_EEvPKT0_PKT1_PT2_iii15HIP_vector_typeIjLj3EESB_SB_SB_SB_iiiiiiiiiiiDpT3_
		.amdhsa_group_segment_fixed_size 0
		.amdhsa_private_segment_fixed_size 0
		.amdhsa_kernarg_size 440
		.amdhsa_user_sgpr_count 13
		.amdhsa_user_sgpr_dispatch_ptr 0
		.amdhsa_user_sgpr_queue_ptr 0
		.amdhsa_user_sgpr_kernarg_segment_ptr 1
		.amdhsa_user_sgpr_dispatch_id 0
		.amdhsa_user_sgpr_private_segment_size 0
		.amdhsa_wavefront_size32 1
		.amdhsa_uses_dynamic_stack 0
		.amdhsa_enable_private_segment 0
		.amdhsa_system_sgpr_workgroup_id_x 1
		.amdhsa_system_sgpr_workgroup_id_y 1
		.amdhsa_system_sgpr_workgroup_id_z 1
		.amdhsa_system_sgpr_workgroup_info 0
		.amdhsa_system_vgpr_workitem_id 2
		.amdhsa_next_free_vgpr 17
		.amdhsa_next_free_sgpr 36
		.amdhsa_reserve_vcc 1
		.amdhsa_float_round_mode_32 0
		.amdhsa_float_round_mode_16_64 0
		.amdhsa_float_denorm_mode_32 3
		.amdhsa_float_denorm_mode_16_64 3
		.amdhsa_dx10_clamp 1
		.amdhsa_ieee_mode 1
		.amdhsa_fp16_overflow 0
		.amdhsa_workgroup_processor_mode 1
		.amdhsa_memory_ordered 1
		.amdhsa_forward_progress 0
		.amdhsa_shared_vgpr_count 0
		.amdhsa_exception_fp_ieee_invalid_op 0
		.amdhsa_exception_fp_denorm_src 0
		.amdhsa_exception_fp_ieee_div_zero 0
		.amdhsa_exception_fp_ieee_overflow 0
		.amdhsa_exception_fp_ieee_underflow 0
		.amdhsa_exception_fp_ieee_inexact 0
		.amdhsa_exception_int_div_zero 0
	.end_amdhsa_kernel
	.section	.text._ZL11k_bin_bcastIXadL_ZL6op_mulffEEfffJPKfS1_S1_S1_S1_EEvPKT0_PKT1_PT2_iii15HIP_vector_typeIjLj3EESB_SB_SB_SB_iiiiiiiiiiiDpT3_,"axG",@progbits,_ZL11k_bin_bcastIXadL_ZL6op_mulffEEfffJPKfS1_S1_S1_S1_EEvPKT0_PKT1_PT2_iii15HIP_vector_typeIjLj3EESB_SB_SB_SB_iiiiiiiiiiiDpT3_,comdat
.Lfunc_end121:
	.size	_ZL11k_bin_bcastIXadL_ZL6op_mulffEEfffJPKfS1_S1_S1_S1_EEvPKT0_PKT1_PT2_iii15HIP_vector_typeIjLj3EESB_SB_SB_SB_iiiiiiiiiiiDpT3_, .Lfunc_end121-_ZL11k_bin_bcastIXadL_ZL6op_mulffEEfffJPKfS1_S1_S1_S1_EEvPKT0_PKT1_PT2_iii15HIP_vector_typeIjLj3EESB_SB_SB_SB_iiiiiiiiiiiDpT3_
                                        ; -- End function
	.section	.AMDGPU.csdata,"",@progbits
; Kernel info:
; codeLenInByte = 1020
; NumSgprs: 38
; NumVgprs: 17
; ScratchSize: 0
; MemoryBound: 0
; FloatMode: 240
; IeeeMode: 1
; LDSByteSize: 0 bytes/workgroup (compile time only)
; SGPRBlocks: 4
; VGPRBlocks: 2
; NumSGPRsForWavesPerEU: 38
; NumVGPRsForWavesPerEU: 17
; Occupancy: 16
; WaveLimiterHint : 1
; COMPUTE_PGM_RSRC2:SCRATCH_EN: 0
; COMPUTE_PGM_RSRC2:USER_SGPR: 13
; COMPUTE_PGM_RSRC2:TRAP_HANDLER: 0
; COMPUTE_PGM_RSRC2:TGID_X_EN: 1
; COMPUTE_PGM_RSRC2:TGID_Y_EN: 1
; COMPUTE_PGM_RSRC2:TGID_Z_EN: 1
; COMPUTE_PGM_RSRC2:TIDIG_COMP_CNT: 2
	.section	.text._ZL19k_bin_bcast_unravelIXadL_ZL6op_mulffEE6__halfS0_S0_JPKS0_S2_S2_S2_S2_EEvPKT0_PKT1_PT2_15HIP_vector_typeIjLj3EESC_SC_jSC_SC_SC_SC_SC_SC_iiiiiiiiiiiDpT3_,"axG",@progbits,_ZL19k_bin_bcast_unravelIXadL_ZL6op_mulffEE6__halfS0_S0_JPKS0_S2_S2_S2_S2_EEvPKT0_PKT1_PT2_15HIP_vector_typeIjLj3EESC_SC_jSC_SC_SC_SC_SC_SC_iiiiiiiiiiiDpT3_,comdat
	.globl	_ZL19k_bin_bcast_unravelIXadL_ZL6op_mulffEE6__halfS0_S0_JPKS0_S2_S2_S2_S2_EEvPKT0_PKT1_PT2_15HIP_vector_typeIjLj3EESC_SC_jSC_SC_SC_SC_SC_SC_iiiiiiiiiiiDpT3_ ; -- Begin function _ZL19k_bin_bcast_unravelIXadL_ZL6op_mulffEE6__halfS0_S0_JPKS0_S2_S2_S2_S2_EEvPKT0_PKT1_PT2_15HIP_vector_typeIjLj3EESC_SC_jSC_SC_SC_SC_SC_SC_iiiiiiiiiiiDpT3_
	.p2align	8
	.type	_ZL19k_bin_bcast_unravelIXadL_ZL6op_mulffEE6__halfS0_S0_JPKS0_S2_S2_S2_S2_EEvPKT0_PKT1_PT2_15HIP_vector_typeIjLj3EESC_SC_jSC_SC_SC_SC_SC_SC_iiiiiiiiiiiDpT3_,@function
_ZL19k_bin_bcast_unravelIXadL_ZL6op_mulffEE6__halfS0_S0_JPKS0_S2_S2_S2_S2_EEvPKT0_PKT1_PT2_15HIP_vector_typeIjLj3EESC_SC_jSC_SC_SC_SC_SC_SC_iiiiiiiiiiiDpT3_: ; @_ZL19k_bin_bcast_unravelIXadL_ZL6op_mulffEE6__halfS0_S0_JPKS0_S2_S2_S2_S2_EEvPKT0_PKT1_PT2_15HIP_vector_typeIjLj3EESC_SC_jSC_SC_SC_SC_SC_SC_iiiiiiiiiiiDpT3_
; %bb.0:
	s_clause 0x1
	s_load_b32 s2, s[0:1], 0xec
	s_load_b256 s[4:11], s[0:1], 0x38
	s_waitcnt lgkmcnt(0)
	s_and_b32 s2, s2, 0xffff
	s_delay_alu instid0(SALU_CYCLE_1) | instskip(SKIP_3) | instid1(VALU_DEP_1)
	v_mad_u64_u32 v[2:3], null, s15, s2, v[0:1]
	s_clause 0x1
	s_load_b128 s[12:15], s[0:1], 0x18
	s_load_b32 s2, s[0:1], 0x2c
	v_mul_hi_u32 v0, v2, s6
	s_delay_alu instid0(VALU_DEP_1) | instskip(NEXT) | instid1(VALU_DEP_1)
	v_add_nc_u32_e32 v0, v2, v0
	v_lshrrev_b32_e32 v1, s7, v0
	s_delay_alu instid0(VALU_DEP_1) | instskip(NEXT) | instid1(VALU_DEP_1)
	v_mul_lo_u32 v0, v1, s8
	v_sub_nc_u32_e32 v0, v2, v0
	s_delay_alu instid0(VALU_DEP_1) | instskip(NEXT) | instid1(VALU_DEP_1)
	v_mul_hi_u32 v2, v0, s9
	v_add_nc_u32_e32 v2, v0, v2
	s_delay_alu instid0(VALU_DEP_1) | instskip(NEXT) | instid1(VALU_DEP_1)
	v_lshrrev_b32_e32 v2, s10, v2
	v_mul_lo_u32 v3, v2, s11
	v_cmp_gt_u32_e64 s3, s4, v2
	v_cmp_gt_u32_e64 s4, s5, v1
	s_delay_alu instid0(VALU_DEP_3) | instskip(SKIP_1) | instid1(VALU_DEP_1)
	v_sub_nc_u32_e32 v0, v0, v3
	s_waitcnt lgkmcnt(0)
	v_mul_hi_u32 v3, v0, s12
	s_delay_alu instid0(VALU_DEP_1) | instskip(NEXT) | instid1(VALU_DEP_1)
	v_add_nc_u32_e32 v3, v0, v3
	v_lshrrev_b32_e32 v3, s13, v3
	s_delay_alu instid0(VALU_DEP_1) | instskip(SKIP_1) | instid1(VALU_DEP_2)
	v_mul_lo_u32 v4, v3, s14
	v_cmp_gt_u32_e64 s2, s2, v3
	v_sub_nc_u32_e32 v0, v0, v4
	s_delay_alu instid0(VALU_DEP_1) | instskip(NEXT) | instid1(VALU_DEP_3)
	v_cmp_gt_u32_e32 vcc_lo, s14, v0
	s_and_b32 s2, vcc_lo, s2
	s_delay_alu instid0(SALU_CYCLE_1) | instskip(NEXT) | instid1(SALU_CYCLE_1)
	s_and_b32 s2, s2, s3
	s_and_b32 s2, s4, s2
	s_delay_alu instid0(SALU_CYCLE_1)
	s_and_saveexec_b32 s3, s2
	s_cbranch_execz .LBB122_5
; %bb.1:
	s_clause 0x4
	s_load_b64 s[2:3], s[0:1], 0x0
	s_load_b128 s[20:23], s[0:1], 0xa8
	s_load_b256 s[4:11], s[0:1], 0x88
	s_load_b128 s[24:27], s[0:1], 0x78
	s_load_b256 s[12:19], s[0:1], 0x58
	s_waitcnt lgkmcnt(0)
	s_cmp_eq_u64 s[2:3], 0
	s_cbranch_scc1 .LBB122_3
; %bb.2:
	v_mul_lo_u32 v4, v1, s10
	v_mul_lo_u32 v6, v2, s9
	;; [unrolled: 1-line block ×3, first 2 shown]
	v_mov_b32_e32 v5, 0
	s_delay_alu instid0(VALU_DEP_2) | instskip(NEXT) | instid1(VALU_DEP_1)
	v_add3_u32 v4, v6, v4, v7
	v_lshlrev_b64 v[6:7], 1, v[4:5]
	v_mul_lo_u32 v4, v0, s7
	s_delay_alu instid0(VALU_DEP_2) | instskip(NEXT) | instid1(VALU_DEP_3)
	v_add_co_u32 v6, vcc_lo, s2, v6
	v_add_co_ci_u32_e32 v7, vcc_lo, s3, v7, vcc_lo
	s_delay_alu instid0(VALU_DEP_3) | instskip(NEXT) | instid1(VALU_DEP_1)
	v_lshlrev_b64 v[4:5], 1, v[4:5]
	v_add_co_u32 v4, vcc_lo, v6, v4
	s_delay_alu instid0(VALU_DEP_2)
	v_add_co_ci_u32_e32 v5, vcc_lo, v7, v5, vcc_lo
	global_load_u16 v4, v[4:5], off
	s_waitcnt vmcnt(0)
	v_cvt_f32_f16_e32 v4, v4
	s_branch .LBB122_4
.LBB122_3:
	v_mov_b32_e32 v4, 0
.LBB122_4:
	v_mul_hi_u32 v5, s25, v1
	v_mul_hi_u32 v6, s18, v2
	;; [unrolled: 1-line block ×4, first 2 shown]
	s_load_b64 s[2:3], s[0:1], 0xd8
	s_delay_alu instid0(VALU_DEP_4) | instskip(NEXT) | instid1(VALU_DEP_4)
	v_add_nc_u32_e32 v5, v1, v5
	v_add_nc_u32_e32 v6, v2, v6
	s_delay_alu instid0(VALU_DEP_4) | instskip(NEXT) | instid1(VALU_DEP_4)
	v_add_nc_u32_e32 v7, v3, v7
	v_add_nc_u32_e32 v8, v0, v8
	s_delay_alu instid0(VALU_DEP_4) | instskip(NEXT) | instid1(VALU_DEP_4)
	v_lshrrev_b32_e32 v5, s26, v5
	v_lshrrev_b32_e32 v6, s19, v6
	s_delay_alu instid0(VALU_DEP_4) | instskip(NEXT) | instid1(VALU_DEP_4)
	v_lshrrev_b32_e32 v7, s16, v7
	v_lshrrev_b32_e32 v8, s13, v8
	s_delay_alu instid0(VALU_DEP_4) | instskip(NEXT) | instid1(VALU_DEP_4)
	v_mul_lo_u32 v5, v5, s27
	v_mul_lo_u32 v6, v6, s24
	s_delay_alu instid0(VALU_DEP_4) | instskip(NEXT) | instid1(VALU_DEP_4)
	v_mul_lo_u32 v7, v7, s17
	v_mul_lo_u32 v8, v8, s14
	s_delay_alu instid0(VALU_DEP_4) | instskip(NEXT) | instid1(VALU_DEP_4)
	v_sub_nc_u32_e32 v5, v1, v5
	v_sub_nc_u32_e32 v6, v2, v6
	s_delay_alu instid0(VALU_DEP_4) | instskip(NEXT) | instid1(VALU_DEP_4)
	v_sub_nc_u32_e32 v7, v3, v7
	v_sub_nc_u32_e32 v8, v0, v8
	v_mul_lo_u32 v1, v1, s6
	v_mul_lo_u32 v5, v5, s22
	;; [unrolled: 1-line block ×5, first 2 shown]
	s_clause 0x1
	s_load_b256 s[8:15], s[0:1], 0xb8
	s_load_b64 s[0:1], s[0:1], 0x10
	v_mul_lo_u32 v2, v2, s5
	s_delay_alu instid0(VALU_DEP_3) | instskip(NEXT) | instid1(VALU_DEP_3)
	v_add3_u32 v5, v6, v5, v7
	v_ashrrev_i32_e32 v6, 31, v8
	s_delay_alu instid0(VALU_DEP_2) | instskip(SKIP_1) | instid1(VALU_DEP_2)
	v_ashrrev_i32_e32 v7, 31, v5
	v_add_co_u32 v5, vcc_lo, v8, v5
	v_add_co_ci_u32_e32 v6, vcc_lo, v6, v7, vcc_lo
	s_delay_alu instid0(VALU_DEP_1) | instskip(SKIP_1) | instid1(VALU_DEP_1)
	v_lshlrev_b64 v[5:6], 1, v[5:6]
	s_waitcnt lgkmcnt(0)
	v_add_co_u32 v7, vcc_lo, s8, v5
	s_delay_alu instid0(VALU_DEP_2)
	v_add_co_ci_u32_e32 v8, vcc_lo, s9, v6, vcc_lo
	v_add_co_u32 v9, vcc_lo, s10, v5
	v_add_co_ci_u32_e32 v10, vcc_lo, s11, v6, vcc_lo
	global_load_u16 v11, v[7:8], off
	v_add_co_u32 v7, vcc_lo, s12, v5
	v_add_co_ci_u32_e32 v8, vcc_lo, s13, v6, vcc_lo
	global_load_u16 v12, v[9:10], off
	;; [unrolled: 3-line block ×3, first 2 shown]
	global_load_u16 v8, v[9:10], off
	v_add_co_u32 v5, vcc_lo, s2, v5
	v_add_co_ci_u32_e32 v6, vcc_lo, s3, v6, vcc_lo
	v_mul_lo_u32 v9, v3, s4
	v_mov_b32_e32 v3, 0
	global_load_u16 v5, v[5:6], off
	v_add3_u32 v2, v2, v1, v9
	v_mov_b32_e32 v1, v3
	s_delay_alu instid0(VALU_DEP_2) | instskip(NEXT) | instid1(VALU_DEP_2)
	v_lshlrev_b64 v[2:3], 1, v[2:3]
	v_lshlrev_b64 v[0:1], 1, v[0:1]
	s_delay_alu instid0(VALU_DEP_2) | instskip(NEXT) | instid1(VALU_DEP_3)
	v_add_co_u32 v2, vcc_lo, s0, v2
	v_add_co_ci_u32_e32 v3, vcc_lo, s1, v3, vcc_lo
	s_delay_alu instid0(VALU_DEP_2) | instskip(NEXT) | instid1(VALU_DEP_2)
	v_add_co_u32 v0, vcc_lo, v2, v0
	v_add_co_ci_u32_e32 v1, vcc_lo, v3, v1, vcc_lo
	s_waitcnt vmcnt(4)
	v_cvt_f32_f16_e32 v6, v11
	s_waitcnt vmcnt(3)
	v_cvt_f32_f16_e32 v10, v12
	s_delay_alu instid0(VALU_DEP_2) | instskip(SKIP_2) | instid1(VALU_DEP_2)
	v_mul_f32_e32 v4, v4, v6
	s_waitcnt vmcnt(2)
	v_cvt_f32_f16_e32 v6, v7
	v_mul_f32_e32 v4, v4, v10
	s_waitcnt vmcnt(1)
	v_cvt_f32_f16_e32 v7, v8
	s_delay_alu instid0(VALU_DEP_2) | instskip(NEXT) | instid1(VALU_DEP_1)
	v_mul_f32_e32 v4, v4, v6
	v_mul_f32_e32 v4, v4, v7
	s_waitcnt vmcnt(0)
	s_delay_alu instid0(VALU_DEP_1)
	v_fma_mixlo_f16 v4, v4, v5, 0 op_sel_hi:[0,1,0]
	global_store_b16 v[0:1], v4, off
.LBB122_5:
	s_nop 0
	s_sendmsg sendmsg(MSG_DEALLOC_VGPRS)
	s_endpgm
	.section	.rodata,"a",@progbits
	.p2align	6, 0x0
	.amdhsa_kernel _ZL19k_bin_bcast_unravelIXadL_ZL6op_mulffEE6__halfS0_S0_JPKS0_S2_S2_S2_S2_EEvPKT0_PKT1_PT2_15HIP_vector_typeIjLj3EESC_SC_jSC_SC_SC_SC_SC_SC_iiiiiiiiiiiDpT3_
		.amdhsa_group_segment_fixed_size 0
		.amdhsa_private_segment_fixed_size 0
		.amdhsa_kernarg_size 480
		.amdhsa_user_sgpr_count 15
		.amdhsa_user_sgpr_dispatch_ptr 0
		.amdhsa_user_sgpr_queue_ptr 0
		.amdhsa_user_sgpr_kernarg_segment_ptr 1
		.amdhsa_user_sgpr_dispatch_id 0
		.amdhsa_user_sgpr_private_segment_size 0
		.amdhsa_wavefront_size32 1
		.amdhsa_uses_dynamic_stack 0
		.amdhsa_enable_private_segment 0
		.amdhsa_system_sgpr_workgroup_id_x 1
		.amdhsa_system_sgpr_workgroup_id_y 0
		.amdhsa_system_sgpr_workgroup_id_z 0
		.amdhsa_system_sgpr_workgroup_info 0
		.amdhsa_system_vgpr_workitem_id 0
		.amdhsa_next_free_vgpr 13
		.amdhsa_next_free_sgpr 28
		.amdhsa_reserve_vcc 1
		.amdhsa_float_round_mode_32 0
		.amdhsa_float_round_mode_16_64 0
		.amdhsa_float_denorm_mode_32 3
		.amdhsa_float_denorm_mode_16_64 3
		.amdhsa_dx10_clamp 1
		.amdhsa_ieee_mode 1
		.amdhsa_fp16_overflow 0
		.amdhsa_workgroup_processor_mode 1
		.amdhsa_memory_ordered 1
		.amdhsa_forward_progress 0
		.amdhsa_shared_vgpr_count 0
		.amdhsa_exception_fp_ieee_invalid_op 0
		.amdhsa_exception_fp_denorm_src 0
		.amdhsa_exception_fp_ieee_div_zero 0
		.amdhsa_exception_fp_ieee_overflow 0
		.amdhsa_exception_fp_ieee_underflow 0
		.amdhsa_exception_fp_ieee_inexact 0
		.amdhsa_exception_int_div_zero 0
	.end_amdhsa_kernel
	.section	.text._ZL19k_bin_bcast_unravelIXadL_ZL6op_mulffEE6__halfS0_S0_JPKS0_S2_S2_S2_S2_EEvPKT0_PKT1_PT2_15HIP_vector_typeIjLj3EESC_SC_jSC_SC_SC_SC_SC_SC_iiiiiiiiiiiDpT3_,"axG",@progbits,_ZL19k_bin_bcast_unravelIXadL_ZL6op_mulffEE6__halfS0_S0_JPKS0_S2_S2_S2_S2_EEvPKT0_PKT1_PT2_15HIP_vector_typeIjLj3EESC_SC_jSC_SC_SC_SC_SC_SC_iiiiiiiiiiiDpT3_,comdat
.Lfunc_end122:
	.size	_ZL19k_bin_bcast_unravelIXadL_ZL6op_mulffEE6__halfS0_S0_JPKS0_S2_S2_S2_S2_EEvPKT0_PKT1_PT2_15HIP_vector_typeIjLj3EESC_SC_jSC_SC_SC_SC_SC_SC_iiiiiiiiiiiDpT3_, .Lfunc_end122-_ZL19k_bin_bcast_unravelIXadL_ZL6op_mulffEE6__halfS0_S0_JPKS0_S2_S2_S2_S2_EEvPKT0_PKT1_PT2_15HIP_vector_typeIjLj3EESC_SC_jSC_SC_SC_SC_SC_SC_iiiiiiiiiiiDpT3_
                                        ; -- End function
	.section	.AMDGPU.csdata,"",@progbits
; Kernel info:
; codeLenInByte = 964
; NumSgprs: 30
; NumVgprs: 13
; ScratchSize: 0
; MemoryBound: 0
; FloatMode: 240
; IeeeMode: 1
; LDSByteSize: 0 bytes/workgroup (compile time only)
; SGPRBlocks: 3
; VGPRBlocks: 1
; NumSGPRsForWavesPerEU: 30
; NumVGPRsForWavesPerEU: 13
; Occupancy: 16
; WaveLimiterHint : 1
; COMPUTE_PGM_RSRC2:SCRATCH_EN: 0
; COMPUTE_PGM_RSRC2:USER_SGPR: 15
; COMPUTE_PGM_RSRC2:TRAP_HANDLER: 0
; COMPUTE_PGM_RSRC2:TGID_X_EN: 1
; COMPUTE_PGM_RSRC2:TGID_Y_EN: 0
; COMPUTE_PGM_RSRC2:TGID_Z_EN: 0
; COMPUTE_PGM_RSRC2:TIDIG_COMP_CNT: 0
	.section	.text._ZL11k_bin_bcastIXadL_ZL6op_mulffEE6__halfS0_S0_JPKS0_S2_S2_S2_S2_EEvPKT0_PKT1_PT2_iii15HIP_vector_typeIjLj3EESC_SC_SC_SC_iiiiiiiiiiiDpT3_,"axG",@progbits,_ZL11k_bin_bcastIXadL_ZL6op_mulffEE6__halfS0_S0_JPKS0_S2_S2_S2_S2_EEvPKT0_PKT1_PT2_iii15HIP_vector_typeIjLj3EESC_SC_SC_SC_iiiiiiiiiiiDpT3_,comdat
	.globl	_ZL11k_bin_bcastIXadL_ZL6op_mulffEE6__halfS0_S0_JPKS0_S2_S2_S2_S2_EEvPKT0_PKT1_PT2_iii15HIP_vector_typeIjLj3EESC_SC_SC_SC_iiiiiiiiiiiDpT3_ ; -- Begin function _ZL11k_bin_bcastIXadL_ZL6op_mulffEE6__halfS0_S0_JPKS0_S2_S2_S2_S2_EEvPKT0_PKT1_PT2_iii15HIP_vector_typeIjLj3EESC_SC_SC_SC_iiiiiiiiiiiDpT3_
	.p2align	8
	.type	_ZL11k_bin_bcastIXadL_ZL6op_mulffEE6__halfS0_S0_JPKS0_S2_S2_S2_S2_EEvPKT0_PKT1_PT2_iii15HIP_vector_typeIjLj3EESC_SC_SC_SC_iiiiiiiiiiiDpT3_,@function
_ZL11k_bin_bcastIXadL_ZL6op_mulffEE6__halfS0_S0_JPKS0_S2_S2_S2_S2_EEvPKT0_PKT1_PT2_iii15HIP_vector_typeIjLj3EESC_SC_SC_SC_iiiiiiiiiiiDpT3_: ; @_ZL11k_bin_bcastIXadL_ZL6op_mulffEE6__halfS0_S0_JPKS0_S2_S2_S2_S2_EEvPKT0_PKT1_PT2_iii15HIP_vector_typeIjLj3EESC_SC_SC_SC_iiiiiiiiiiiDpT3_
; %bb.0:
	s_clause 0x1
	s_load_b64 s[2:3], s[0:1], 0xc4
	s_load_b256 s[16:23], s[0:1], 0x18
	v_bfe_u32 v1, v0, 20, 10
	s_add_u32 s34, s0, 0xb8
	s_addc_u32 s35, s1, 0
	s_waitcnt lgkmcnt(0)
	s_and_b32 s3, s3, 0xffff
	s_delay_alu instid0(SALU_CYCLE_1) | instskip(SKIP_3) | instid1(VALU_DEP_3)
	v_mad_u64_u32 v[4:5], null, s15, s3, v[1:2]
	v_and_b32_e32 v2, 0x3ff, v0
	v_bfe_u32 v5, v0, 10, 10
	s_lshr_b32 s3, s2, 16
	v_mul_hi_u32 v1, v4, s19
	s_delay_alu instid0(VALU_DEP_1) | instskip(NEXT) | instid1(VALU_DEP_1)
	v_add_nc_u32_e32 v1, v4, v1
	v_lshrrev_b32_e32 v3, s20, v1
	s_and_b32 s20, s2, 0xffff
	s_delay_alu instid0(VALU_DEP_1) | instskip(SKIP_1) | instid1(VALU_DEP_2)
	v_mul_lo_u32 v6, v3, s21
	v_mad_u64_u32 v[0:1], null, s13, s20, v[2:3]
	v_mad_u64_u32 v[1:2], null, s14, s3, v[5:6]
	v_sub_nc_u32_e32 v4, v4, v6
	s_delay_alu instid0(VALU_DEP_3) | instskip(SKIP_1) | instid1(VALU_DEP_3)
	v_cmp_gt_u32_e32 vcc_lo, s16, v0
	v_cmp_gt_u32_e64 s3, s18, v3
	v_cmp_gt_u32_e64 s4, s21, v4
	;; [unrolled: 1-line block ×3, first 2 shown]
	s_delay_alu instid0(VALU_DEP_1)
	s_and_b32 s2, vcc_lo, s2
	s_delay_alu instid0(VALU_DEP_3) | instid1(SALU_CYCLE_1)
	s_and_b32 s2, s2, s3
	s_delay_alu instid0(VALU_DEP_2) | instid1(SALU_CYCLE_1)
	s_and_b32 s2, s2, s4
	s_delay_alu instid0(SALU_CYCLE_1)
	s_and_saveexec_b32 s3, s2
	s_cbranch_execz .LBB123_6
; %bb.1:
	v_cmp_gt_i32_e32 vcc_lo, s16, v0
	s_and_b32 exec_lo, exec_lo, vcc_lo
	s_cbranch_execz .LBB123_6
; %bb.2:
	s_clause 0x2
	s_load_b256 s[24:31], s[0:1], 0x3c
	s_load_b256 s[4:11], s[0:1], 0x60
	s_load_b128 s[12:15], s[0:1], 0x80
	s_waitcnt lgkmcnt(0)
	s_load_b32 s15, s[34:35], 0x0
	s_clause 0x4
	s_load_b32 s17, s[0:1], 0x5c
	s_load_b64 s[34:35], s[0:1], 0x0
	s_load_b32 s21, s[0:1], 0x38
	s_load_b64 s[18:19], s[0:1], 0x10
	s_load_b64 s[2:3], s[0:1], 0xb0
	v_mul_hi_u32 v2, s24, v1
	v_mul_hi_u32 v5, s27, v3
	;; [unrolled: 1-line block ×3, first 2 shown]
	v_mul_lo_u32 v9, v4, s10
	v_mul_lo_u32 v10, v3, s9
	v_mul_lo_u32 v11, v1, s8
	v_mov_b32_e32 v6, 0
	v_mul_lo_u32 v12, v4, s6
	v_add_nc_u32_e32 v2, v1, v2
	v_add_nc_u32_e32 v5, v3, v5
	s_delay_alu instid0(VALU_DEP_4) | instskip(SKIP_1) | instid1(VALU_DEP_4)
	v_dual_mov_b32 v8, v6 :: v_dual_add_nc_u32 v7, v4, v7
	v_mul_lo_u32 v13, v3, s5
	v_lshrrev_b32_e32 v2, s25, v2
	s_delay_alu instid0(VALU_DEP_4) | instskip(NEXT) | instid1(VALU_DEP_4)
	v_lshrrev_b32_e32 v15, s28, v5
	v_lshrrev_b32_e32 v16, s31, v7
	v_add3_u32 v5, v10, v11, v9
	v_mul_lo_u32 v14, v1, s4
	v_mul_lo_u32 v9, v2, s26
	;; [unrolled: 1-line block ×3, first 2 shown]
	s_waitcnt lgkmcnt(0)
	v_mul_lo_u32 v11, v16, s17
	v_lshlrev_b64 v[5:6], 1, v[5:6]
	s_load_b256 s[24:31], s[0:1], 0x90
	s_cmp_lg_u64 s[34:35], 0
	v_mul_lo_u32 v2, s7, v0
	v_add3_u32 v7, v13, v14, v12
	v_sub_nc_u32_e32 v1, v1, v9
	v_sub_nc_u32_e32 v3, v3, v10
	;; [unrolled: 1-line block ×3, first 2 shown]
	v_add_co_u32 v9, vcc_lo, s34, v5
	v_add_co_ci_u32_e32 v5, vcc_lo, s35, v6, vcc_lo
	v_lshlrev_b64 v[7:8], 1, v[7:8]
	s_delay_alu instid0(VALU_DEP_4)
	v_mul_lo_u32 v10, v4, s14
	v_mul_lo_u32 v3, v3, s13
	;; [unrolled: 1-line block ×3, first 2 shown]
	s_cselect_b32 vcc_lo, -1, 0
	s_mul_i32 s4, s15, s20
	v_cndmask_b32_e32 v5, 0, v5, vcc_lo
	v_cndmask_b32_e32 v4, 0, v9, vcc_lo
	v_add_co_u32 v6, vcc_lo, s18, v7
	v_add_co_ci_u32_e32 v7, vcc_lo, s19, v8, vcc_lo
	s_delay_alu instid0(VALU_DEP_3)
	v_cmp_ne_u64_e32 vcc_lo, 0, v[4:5]
	v_add3_u32 v8, v3, v10, v1
	s_mov_b32 s5, 0
	s_mul_i32 s6, s4, s7
	s_sub_i32 s7, 0, s21
	s_branch .LBB123_4
.LBB123_3:                              ;   in Loop: Header=BB123_4 Depth=1
	s_or_b32 exec_lo, exec_lo, s1
	v_mul_hi_u32 v3, s22, v0
	v_add_nc_u32_e32 v2, s6, v2
	s_delay_alu instid0(VALU_DEP_2) | instskip(NEXT) | instid1(VALU_DEP_1)
	v_add_nc_u32_e32 v3, v0, v3
	v_lshrrev_b32_e32 v3, s23, v3
	s_delay_alu instid0(VALU_DEP_1) | instskip(NEXT) | instid1(VALU_DEP_1)
	v_mad_u64_u32 v[9:10], null, s7, v3, v[0:1]
	v_mul_lo_u32 v3, v9, s11
	s_delay_alu instid0(VALU_DEP_1) | instskip(NEXT) | instid1(VALU_DEP_1)
	v_add_co_u32 v9, s0, v3, v8
	v_add_co_ci_u32_e64 v10, null, 0, 0, s0
	s_delay_alu instid0(VALU_DEP_1) | instskip(SKIP_1) | instid1(VALU_DEP_1)
	v_lshlrev_b64 v[9:10], 1, v[9:10]
	s_waitcnt lgkmcnt(0)
	v_add_co_u32 v11, s0, s24, v9
	s_delay_alu instid0(VALU_DEP_1) | instskip(SKIP_1) | instid1(VALU_DEP_1)
	v_add_co_ci_u32_e64 v12, s0, s25, v10, s0
	v_add_co_u32 v13, s0, s26, v9
	v_add_co_ci_u32_e64 v14, s0, s27, v10, s0
	global_load_u16 v3, v[11:12], off
	v_add_co_u32 v11, s0, s28, v9
	s_delay_alu instid0(VALU_DEP_1) | instskip(SKIP_2) | instid1(VALU_DEP_1)
	v_add_co_ci_u32_e64 v12, s0, s29, v10, s0
	global_load_u16 v15, v[13:14], off
	v_add_co_u32 v13, s0, s30, v9
	v_add_co_ci_u32_e64 v14, s0, s31, v10, s0
	global_load_u16 v11, v[11:12], off
	global_load_u16 v12, v[13:14], off
	v_add_co_u32 v9, s0, s2, v9
	s_delay_alu instid0(VALU_DEP_1)
	v_add_co_ci_u32_e64 v10, s0, s3, v10, s0
	global_load_u16 v13, v[9:10], off
	s_waitcnt vmcnt(4)
	v_cvt_f32_f16_e32 v3, v3
	s_waitcnt vmcnt(3)
	v_cvt_f32_f16_e32 v9, v15
	s_delay_alu instid0(VALU_DEP_2) | instskip(SKIP_2) | instid1(VALU_DEP_2)
	v_mul_f32_e32 v1, v1, v3
	s_waitcnt vmcnt(2)
	v_cvt_f32_f16_e32 v3, v11
	v_mul_f32_e32 v9, v1, v9
	v_ashrrev_i32_e32 v1, 31, v0
	s_waitcnt vmcnt(1)
	v_cvt_f32_f16_e32 v11, v12
	s_delay_alu instid0(VALU_DEP_3) | instskip(NEXT) | instid1(VALU_DEP_3)
	v_mul_f32_e32 v3, v9, v3
	v_lshlrev_b64 v[9:10], 1, v[0:1]
	s_delay_alu instid0(VALU_DEP_2) | instskip(NEXT) | instid1(VALU_DEP_1)
	v_dual_mul_f32 v1, v3, v11 :: v_dual_add_nc_u32 v0, s4, v0
	v_cmp_le_i32_e64 s0, s16, v0
	s_delay_alu instid0(VALU_DEP_3) | instskip(SKIP_1) | instid1(VALU_DEP_3)
	v_add_co_u32 v9, s1, v6, v9
	s_waitcnt vmcnt(0)
	v_fma_mixlo_f16 v1, v1, v13, 0 op_sel_hi:[0,1,0]
	v_add_co_ci_u32_e64 v10, s1, v7, v10, s1
	s_or_b32 s5, s0, s5
	global_store_b16 v[9:10], v1, off
	s_and_not1_b32 exec_lo, exec_lo, s5
	s_cbranch_execz .LBB123_6
.LBB123_4:                              ; =>This Inner Loop Header: Depth=1
	v_mov_b32_e32 v1, 0
	s_and_saveexec_b32 s1, vcc_lo
	s_cbranch_execz .LBB123_3
; %bb.5:                                ;   in Loop: Header=BB123_4 Depth=1
	v_ashrrev_i32_e32 v3, 31, v2
	s_delay_alu instid0(VALU_DEP_1) | instskip(NEXT) | instid1(VALU_DEP_1)
	v_lshlrev_b64 v[9:10], 1, v[2:3]
	v_add_co_u32 v9, s0, v4, v9
	s_delay_alu instid0(VALU_DEP_1)
	v_add_co_ci_u32_e64 v10, s0, v5, v10, s0
	global_load_u16 v1, v[9:10], off
	s_waitcnt vmcnt(0)
	v_cvt_f32_f16_e32 v1, v1
	s_branch .LBB123_3
.LBB123_6:
	s_nop 0
	s_sendmsg sendmsg(MSG_DEALLOC_VGPRS)
	s_endpgm
	.section	.rodata,"a",@progbits
	.p2align	6, 0x0
	.amdhsa_kernel _ZL11k_bin_bcastIXadL_ZL6op_mulffEE6__halfS0_S0_JPKS0_S2_S2_S2_S2_EEvPKT0_PKT1_PT2_iii15HIP_vector_typeIjLj3EESC_SC_SC_SC_iiiiiiiiiiiDpT3_
		.amdhsa_group_segment_fixed_size 0
		.amdhsa_private_segment_fixed_size 0
		.amdhsa_kernarg_size 440
		.amdhsa_user_sgpr_count 13
		.amdhsa_user_sgpr_dispatch_ptr 0
		.amdhsa_user_sgpr_queue_ptr 0
		.amdhsa_user_sgpr_kernarg_segment_ptr 1
		.amdhsa_user_sgpr_dispatch_id 0
		.amdhsa_user_sgpr_private_segment_size 0
		.amdhsa_wavefront_size32 1
		.amdhsa_uses_dynamic_stack 0
		.amdhsa_enable_private_segment 0
		.amdhsa_system_sgpr_workgroup_id_x 1
		.amdhsa_system_sgpr_workgroup_id_y 1
		.amdhsa_system_sgpr_workgroup_id_z 1
		.amdhsa_system_sgpr_workgroup_info 0
		.amdhsa_system_vgpr_workitem_id 2
		.amdhsa_next_free_vgpr 17
		.amdhsa_next_free_sgpr 36
		.amdhsa_reserve_vcc 1
		.amdhsa_float_round_mode_32 0
		.amdhsa_float_round_mode_16_64 0
		.amdhsa_float_denorm_mode_32 3
		.amdhsa_float_denorm_mode_16_64 3
		.amdhsa_dx10_clamp 1
		.amdhsa_ieee_mode 1
		.amdhsa_fp16_overflow 0
		.amdhsa_workgroup_processor_mode 1
		.amdhsa_memory_ordered 1
		.amdhsa_forward_progress 0
		.amdhsa_shared_vgpr_count 0
		.amdhsa_exception_fp_ieee_invalid_op 0
		.amdhsa_exception_fp_denorm_src 0
		.amdhsa_exception_fp_ieee_div_zero 0
		.amdhsa_exception_fp_ieee_overflow 0
		.amdhsa_exception_fp_ieee_underflow 0
		.amdhsa_exception_fp_ieee_inexact 0
		.amdhsa_exception_int_div_zero 0
	.end_amdhsa_kernel
	.section	.text._ZL11k_bin_bcastIXadL_ZL6op_mulffEE6__halfS0_S0_JPKS0_S2_S2_S2_S2_EEvPKT0_PKT1_PT2_iii15HIP_vector_typeIjLj3EESC_SC_SC_SC_iiiiiiiiiiiDpT3_,"axG",@progbits,_ZL11k_bin_bcastIXadL_ZL6op_mulffEE6__halfS0_S0_JPKS0_S2_S2_S2_S2_EEvPKT0_PKT1_PT2_iii15HIP_vector_typeIjLj3EESC_SC_SC_SC_iiiiiiiiiiiDpT3_,comdat
.Lfunc_end123:
	.size	_ZL11k_bin_bcastIXadL_ZL6op_mulffEE6__halfS0_S0_JPKS0_S2_S2_S2_S2_EEvPKT0_PKT1_PT2_iii15HIP_vector_typeIjLj3EESC_SC_SC_SC_iiiiiiiiiiiDpT3_, .Lfunc_end123-_ZL11k_bin_bcastIXadL_ZL6op_mulffEE6__halfS0_S0_JPKS0_S2_S2_S2_S2_EEvPKT0_PKT1_PT2_iii15HIP_vector_typeIjLj3EESC_SC_SC_SC_iiiiiiiiiiiDpT3_
                                        ; -- End function
	.section	.AMDGPU.csdata,"",@progbits
; Kernel info:
; codeLenInByte = 1044
; NumSgprs: 38
; NumVgprs: 17
; ScratchSize: 0
; MemoryBound: 0
; FloatMode: 240
; IeeeMode: 1
; LDSByteSize: 0 bytes/workgroup (compile time only)
; SGPRBlocks: 4
; VGPRBlocks: 2
; NumSGPRsForWavesPerEU: 38
; NumVGPRsForWavesPerEU: 17
; Occupancy: 16
; WaveLimiterHint : 1
; COMPUTE_PGM_RSRC2:SCRATCH_EN: 0
; COMPUTE_PGM_RSRC2:USER_SGPR: 13
; COMPUTE_PGM_RSRC2:TRAP_HANDLER: 0
; COMPUTE_PGM_RSRC2:TGID_X_EN: 1
; COMPUTE_PGM_RSRC2:TGID_Y_EN: 1
; COMPUTE_PGM_RSRC2:TGID_Z_EN: 1
; COMPUTE_PGM_RSRC2:TIDIG_COMP_CNT: 2
	.section	.text._ZL19k_bin_bcast_unravelIXadL_ZL6op_mulffEE6__halffS0_JPKfS2_S2_S2_S2_EEvPKT0_PKT1_PT2_15HIP_vector_typeIjLj3EESC_SC_jSC_SC_SC_SC_SC_SC_iiiiiiiiiiiDpT3_,"axG",@progbits,_ZL19k_bin_bcast_unravelIXadL_ZL6op_mulffEE6__halffS0_JPKfS2_S2_S2_S2_EEvPKT0_PKT1_PT2_15HIP_vector_typeIjLj3EESC_SC_jSC_SC_SC_SC_SC_SC_iiiiiiiiiiiDpT3_,comdat
	.globl	_ZL19k_bin_bcast_unravelIXadL_ZL6op_mulffEE6__halffS0_JPKfS2_S2_S2_S2_EEvPKT0_PKT1_PT2_15HIP_vector_typeIjLj3EESC_SC_jSC_SC_SC_SC_SC_SC_iiiiiiiiiiiDpT3_ ; -- Begin function _ZL19k_bin_bcast_unravelIXadL_ZL6op_mulffEE6__halffS0_JPKfS2_S2_S2_S2_EEvPKT0_PKT1_PT2_15HIP_vector_typeIjLj3EESC_SC_jSC_SC_SC_SC_SC_SC_iiiiiiiiiiiDpT3_
	.p2align	8
	.type	_ZL19k_bin_bcast_unravelIXadL_ZL6op_mulffEE6__halffS0_JPKfS2_S2_S2_S2_EEvPKT0_PKT1_PT2_15HIP_vector_typeIjLj3EESC_SC_jSC_SC_SC_SC_SC_SC_iiiiiiiiiiiDpT3_,@function
_ZL19k_bin_bcast_unravelIXadL_ZL6op_mulffEE6__halffS0_JPKfS2_S2_S2_S2_EEvPKT0_PKT1_PT2_15HIP_vector_typeIjLj3EESC_SC_jSC_SC_SC_SC_SC_SC_iiiiiiiiiiiDpT3_: ; @_ZL19k_bin_bcast_unravelIXadL_ZL6op_mulffEE6__halffS0_JPKfS2_S2_S2_S2_EEvPKT0_PKT1_PT2_15HIP_vector_typeIjLj3EESC_SC_jSC_SC_SC_SC_SC_SC_iiiiiiiiiiiDpT3_
; %bb.0:
	s_clause 0x1
	s_load_b32 s2, s[0:1], 0xec
	s_load_b256 s[4:11], s[0:1], 0x38
	s_waitcnt lgkmcnt(0)
	s_and_b32 s2, s2, 0xffff
	s_delay_alu instid0(SALU_CYCLE_1) | instskip(SKIP_3) | instid1(VALU_DEP_1)
	v_mad_u64_u32 v[2:3], null, s15, s2, v[0:1]
	s_clause 0x1
	s_load_b128 s[12:15], s[0:1], 0x18
	s_load_b32 s2, s[0:1], 0x2c
	v_mul_hi_u32 v0, v2, s6
	s_delay_alu instid0(VALU_DEP_1) | instskip(NEXT) | instid1(VALU_DEP_1)
	v_add_nc_u32_e32 v0, v2, v0
	v_lshrrev_b32_e32 v1, s7, v0
	s_delay_alu instid0(VALU_DEP_1) | instskip(NEXT) | instid1(VALU_DEP_1)
	v_mul_lo_u32 v0, v1, s8
	v_sub_nc_u32_e32 v0, v2, v0
	s_delay_alu instid0(VALU_DEP_1) | instskip(NEXT) | instid1(VALU_DEP_1)
	v_mul_hi_u32 v2, v0, s9
	v_add_nc_u32_e32 v2, v0, v2
	s_delay_alu instid0(VALU_DEP_1) | instskip(NEXT) | instid1(VALU_DEP_1)
	v_lshrrev_b32_e32 v2, s10, v2
	v_mul_lo_u32 v3, v2, s11
	v_cmp_gt_u32_e64 s3, s4, v2
	v_cmp_gt_u32_e64 s4, s5, v1
	s_delay_alu instid0(VALU_DEP_3) | instskip(SKIP_1) | instid1(VALU_DEP_1)
	v_sub_nc_u32_e32 v0, v0, v3
	s_waitcnt lgkmcnt(0)
	v_mul_hi_u32 v3, v0, s12
	s_delay_alu instid0(VALU_DEP_1) | instskip(NEXT) | instid1(VALU_DEP_1)
	v_add_nc_u32_e32 v3, v0, v3
	v_lshrrev_b32_e32 v3, s13, v3
	s_delay_alu instid0(VALU_DEP_1) | instskip(SKIP_1) | instid1(VALU_DEP_2)
	v_mul_lo_u32 v4, v3, s14
	v_cmp_gt_u32_e64 s2, s2, v3
	v_sub_nc_u32_e32 v0, v0, v4
	s_delay_alu instid0(VALU_DEP_1) | instskip(NEXT) | instid1(VALU_DEP_3)
	v_cmp_gt_u32_e32 vcc_lo, s14, v0
	s_and_b32 s2, vcc_lo, s2
	s_delay_alu instid0(SALU_CYCLE_1) | instskip(NEXT) | instid1(SALU_CYCLE_1)
	s_and_b32 s2, s2, s3
	s_and_b32 s2, s4, s2
	s_delay_alu instid0(SALU_CYCLE_1)
	s_and_saveexec_b32 s3, s2
	s_cbranch_execz .LBB124_5
; %bb.1:
	s_clause 0x4
	s_load_b64 s[2:3], s[0:1], 0x0
	s_load_b128 s[20:23], s[0:1], 0xa8
	s_load_b256 s[4:11], s[0:1], 0x88
	s_load_b128 s[24:27], s[0:1], 0x78
	s_load_b256 s[12:19], s[0:1], 0x58
	s_waitcnt lgkmcnt(0)
	s_cmp_eq_u64 s[2:3], 0
	s_cbranch_scc1 .LBB124_3
; %bb.2:
	v_mul_lo_u32 v4, v1, s10
	v_mul_lo_u32 v6, v2, s9
	;; [unrolled: 1-line block ×3, first 2 shown]
	v_mov_b32_e32 v5, 0
	s_delay_alu instid0(VALU_DEP_2) | instskip(NEXT) | instid1(VALU_DEP_1)
	v_add3_u32 v4, v6, v4, v7
	v_lshlrev_b64 v[6:7], 1, v[4:5]
	v_mul_lo_u32 v4, v0, s7
	s_delay_alu instid0(VALU_DEP_2) | instskip(NEXT) | instid1(VALU_DEP_3)
	v_add_co_u32 v6, vcc_lo, s2, v6
	v_add_co_ci_u32_e32 v7, vcc_lo, s3, v7, vcc_lo
	s_delay_alu instid0(VALU_DEP_3) | instskip(NEXT) | instid1(VALU_DEP_1)
	v_lshlrev_b64 v[4:5], 1, v[4:5]
	v_add_co_u32 v4, vcc_lo, v6, v4
	s_delay_alu instid0(VALU_DEP_2)
	v_add_co_ci_u32_e32 v5, vcc_lo, v7, v5, vcc_lo
	global_load_u16 v4, v[4:5], off
	s_waitcnt vmcnt(0)
	v_cvt_f32_f16_e32 v4, v4
	s_branch .LBB124_4
.LBB124_3:
	v_mov_b32_e32 v4, 0
.LBB124_4:
	v_mul_hi_u32 v5, s25, v1
	v_mul_hi_u32 v6, s18, v2
	;; [unrolled: 1-line block ×4, first 2 shown]
	s_load_b64 s[2:3], s[0:1], 0xd8
	s_delay_alu instid0(VALU_DEP_4) | instskip(NEXT) | instid1(VALU_DEP_4)
	v_add_nc_u32_e32 v5, v1, v5
	v_add_nc_u32_e32 v6, v2, v6
	s_delay_alu instid0(VALU_DEP_4) | instskip(NEXT) | instid1(VALU_DEP_4)
	v_add_nc_u32_e32 v7, v3, v7
	v_add_nc_u32_e32 v8, v0, v8
	s_delay_alu instid0(VALU_DEP_4) | instskip(NEXT) | instid1(VALU_DEP_4)
	v_lshrrev_b32_e32 v5, s26, v5
	v_lshrrev_b32_e32 v6, s19, v6
	s_delay_alu instid0(VALU_DEP_4) | instskip(NEXT) | instid1(VALU_DEP_4)
	v_lshrrev_b32_e32 v7, s16, v7
	v_lshrrev_b32_e32 v8, s13, v8
	s_delay_alu instid0(VALU_DEP_4) | instskip(NEXT) | instid1(VALU_DEP_4)
	v_mul_lo_u32 v5, v5, s27
	v_mul_lo_u32 v6, v6, s24
	s_delay_alu instid0(VALU_DEP_4) | instskip(NEXT) | instid1(VALU_DEP_4)
	v_mul_lo_u32 v7, v7, s17
	v_mul_lo_u32 v8, v8, s14
	s_delay_alu instid0(VALU_DEP_4) | instskip(NEXT) | instid1(VALU_DEP_4)
	v_sub_nc_u32_e32 v5, v1, v5
	v_sub_nc_u32_e32 v6, v2, v6
	s_delay_alu instid0(VALU_DEP_4) | instskip(NEXT) | instid1(VALU_DEP_4)
	v_sub_nc_u32_e32 v7, v3, v7
	v_sub_nc_u32_e32 v8, v0, v8
	v_mul_lo_u32 v1, v1, s6
	v_mul_lo_u32 v5, v5, s22
	v_mul_lo_u32 v6, v6, s21
	v_mul_lo_u32 v7, v7, s20
	v_mul_lo_u32 v8, v8, s11
	s_clause 0x1
	s_load_b256 s[8:15], s[0:1], 0xb8
	s_load_b64 s[0:1], s[0:1], 0x10
	v_mul_lo_u32 v2, v2, s5
	s_delay_alu instid0(VALU_DEP_3) | instskip(NEXT) | instid1(VALU_DEP_3)
	v_add3_u32 v5, v6, v5, v7
	v_ashrrev_i32_e32 v6, 31, v8
	s_delay_alu instid0(VALU_DEP_2) | instskip(SKIP_1) | instid1(VALU_DEP_2)
	v_ashrrev_i32_e32 v7, 31, v5
	v_add_co_u32 v5, vcc_lo, v8, v5
	v_add_co_ci_u32_e32 v6, vcc_lo, v6, v7, vcc_lo
	s_delay_alu instid0(VALU_DEP_1) | instskip(SKIP_1) | instid1(VALU_DEP_1)
	v_lshlrev_b64 v[5:6], 2, v[5:6]
	s_waitcnt lgkmcnt(0)
	v_add_co_u32 v7, vcc_lo, s8, v5
	s_delay_alu instid0(VALU_DEP_2)
	v_add_co_ci_u32_e32 v8, vcc_lo, s9, v6, vcc_lo
	v_add_co_u32 v9, vcc_lo, s10, v5
	v_add_co_ci_u32_e32 v10, vcc_lo, s11, v6, vcc_lo
	global_load_b32 v11, v[7:8], off
	v_add_co_u32 v7, vcc_lo, s12, v5
	v_add_co_ci_u32_e32 v8, vcc_lo, s13, v6, vcc_lo
	global_load_b32 v12, v[9:10], off
	;; [unrolled: 3-line block ×4, first 2 shown]
	global_load_b32 v5, v[5:6], off
	v_mul_lo_u32 v6, v3, s4
	v_mov_b32_e32 v3, 0
	s_delay_alu instid0(VALU_DEP_2) | instskip(NEXT) | instid1(VALU_DEP_2)
	v_add3_u32 v2, v2, v1, v6
	v_mov_b32_e32 v1, v3
	s_delay_alu instid0(VALU_DEP_2) | instskip(NEXT) | instid1(VALU_DEP_2)
	v_lshlrev_b64 v[2:3], 1, v[2:3]
	v_lshlrev_b64 v[0:1], 1, v[0:1]
	s_delay_alu instid0(VALU_DEP_2) | instskip(NEXT) | instid1(VALU_DEP_3)
	v_add_co_u32 v2, vcc_lo, s0, v2
	v_add_co_ci_u32_e32 v3, vcc_lo, s1, v3, vcc_lo
	s_delay_alu instid0(VALU_DEP_2) | instskip(NEXT) | instid1(VALU_DEP_2)
	v_add_co_u32 v0, vcc_lo, v2, v0
	v_add_co_ci_u32_e32 v1, vcc_lo, v3, v1, vcc_lo
	s_waitcnt vmcnt(4)
	v_mul_f32_e32 v4, v4, v11
	s_waitcnt vmcnt(3)
	s_delay_alu instid0(VALU_DEP_1) | instskip(SKIP_1) | instid1(VALU_DEP_1)
	v_mul_f32_e32 v4, v4, v12
	s_waitcnt vmcnt(2)
	v_mul_f32_e32 v4, v4, v7
	s_waitcnt vmcnt(1)
	s_delay_alu instid0(VALU_DEP_1) | instskip(SKIP_1) | instid1(VALU_DEP_1)
	v_mul_f32_e32 v4, v4, v8
	s_waitcnt vmcnt(0)
	v_fma_mixlo_f16 v4, v4, v5, 0
	global_store_b16 v[0:1], v4, off
.LBB124_5:
	s_nop 0
	s_sendmsg sendmsg(MSG_DEALLOC_VGPRS)
	s_endpgm
	.section	.rodata,"a",@progbits
	.p2align	6, 0x0
	.amdhsa_kernel _ZL19k_bin_bcast_unravelIXadL_ZL6op_mulffEE6__halffS0_JPKfS2_S2_S2_S2_EEvPKT0_PKT1_PT2_15HIP_vector_typeIjLj3EESC_SC_jSC_SC_SC_SC_SC_SC_iiiiiiiiiiiDpT3_
		.amdhsa_group_segment_fixed_size 0
		.amdhsa_private_segment_fixed_size 0
		.amdhsa_kernarg_size 480
		.amdhsa_user_sgpr_count 15
		.amdhsa_user_sgpr_dispatch_ptr 0
		.amdhsa_user_sgpr_queue_ptr 0
		.amdhsa_user_sgpr_kernarg_segment_ptr 1
		.amdhsa_user_sgpr_dispatch_id 0
		.amdhsa_user_sgpr_private_segment_size 0
		.amdhsa_wavefront_size32 1
		.amdhsa_uses_dynamic_stack 0
		.amdhsa_enable_private_segment 0
		.amdhsa_system_sgpr_workgroup_id_x 1
		.amdhsa_system_sgpr_workgroup_id_y 0
		.amdhsa_system_sgpr_workgroup_id_z 0
		.amdhsa_system_sgpr_workgroup_info 0
		.amdhsa_system_vgpr_workitem_id 0
		.amdhsa_next_free_vgpr 13
		.amdhsa_next_free_sgpr 28
		.amdhsa_reserve_vcc 1
		.amdhsa_float_round_mode_32 0
		.amdhsa_float_round_mode_16_64 0
		.amdhsa_float_denorm_mode_32 3
		.amdhsa_float_denorm_mode_16_64 3
		.amdhsa_dx10_clamp 1
		.amdhsa_ieee_mode 1
		.amdhsa_fp16_overflow 0
		.amdhsa_workgroup_processor_mode 1
		.amdhsa_memory_ordered 1
		.amdhsa_forward_progress 0
		.amdhsa_shared_vgpr_count 0
		.amdhsa_exception_fp_ieee_invalid_op 0
		.amdhsa_exception_fp_denorm_src 0
		.amdhsa_exception_fp_ieee_div_zero 0
		.amdhsa_exception_fp_ieee_overflow 0
		.amdhsa_exception_fp_ieee_underflow 0
		.amdhsa_exception_fp_ieee_inexact 0
		.amdhsa_exception_int_div_zero 0
	.end_amdhsa_kernel
	.section	.text._ZL19k_bin_bcast_unravelIXadL_ZL6op_mulffEE6__halffS0_JPKfS2_S2_S2_S2_EEvPKT0_PKT1_PT2_15HIP_vector_typeIjLj3EESC_SC_jSC_SC_SC_SC_SC_SC_iiiiiiiiiiiDpT3_,"axG",@progbits,_ZL19k_bin_bcast_unravelIXadL_ZL6op_mulffEE6__halffS0_JPKfS2_S2_S2_S2_EEvPKT0_PKT1_PT2_15HIP_vector_typeIjLj3EESC_SC_jSC_SC_SC_SC_SC_SC_iiiiiiiiiiiDpT3_,comdat
.Lfunc_end124:
	.size	_ZL19k_bin_bcast_unravelIXadL_ZL6op_mulffEE6__halffS0_JPKfS2_S2_S2_S2_EEvPKT0_PKT1_PT2_15HIP_vector_typeIjLj3EESC_SC_jSC_SC_SC_SC_SC_SC_iiiiiiiiiiiDpT3_, .Lfunc_end124-_ZL19k_bin_bcast_unravelIXadL_ZL6op_mulffEE6__halffS0_JPKfS2_S2_S2_S2_EEvPKT0_PKT1_PT2_15HIP_vector_typeIjLj3EESC_SC_jSC_SC_SC_SC_SC_SC_iiiiiiiiiiiDpT3_
                                        ; -- End function
	.section	.AMDGPU.csdata,"",@progbits
; Kernel info:
; codeLenInByte = 948
; NumSgprs: 30
; NumVgprs: 13
; ScratchSize: 0
; MemoryBound: 0
; FloatMode: 240
; IeeeMode: 1
; LDSByteSize: 0 bytes/workgroup (compile time only)
; SGPRBlocks: 3
; VGPRBlocks: 1
; NumSGPRsForWavesPerEU: 30
; NumVGPRsForWavesPerEU: 13
; Occupancy: 16
; WaveLimiterHint : 1
; COMPUTE_PGM_RSRC2:SCRATCH_EN: 0
; COMPUTE_PGM_RSRC2:USER_SGPR: 15
; COMPUTE_PGM_RSRC2:TRAP_HANDLER: 0
; COMPUTE_PGM_RSRC2:TGID_X_EN: 1
; COMPUTE_PGM_RSRC2:TGID_Y_EN: 0
; COMPUTE_PGM_RSRC2:TGID_Z_EN: 0
; COMPUTE_PGM_RSRC2:TIDIG_COMP_CNT: 0
	.section	.text._ZL11k_bin_bcastIXadL_ZL6op_mulffEE6__halffS0_JPKfS2_S2_S2_S2_EEvPKT0_PKT1_PT2_iii15HIP_vector_typeIjLj3EESC_SC_SC_SC_iiiiiiiiiiiDpT3_,"axG",@progbits,_ZL11k_bin_bcastIXadL_ZL6op_mulffEE6__halffS0_JPKfS2_S2_S2_S2_EEvPKT0_PKT1_PT2_iii15HIP_vector_typeIjLj3EESC_SC_SC_SC_iiiiiiiiiiiDpT3_,comdat
	.globl	_ZL11k_bin_bcastIXadL_ZL6op_mulffEE6__halffS0_JPKfS2_S2_S2_S2_EEvPKT0_PKT1_PT2_iii15HIP_vector_typeIjLj3EESC_SC_SC_SC_iiiiiiiiiiiDpT3_ ; -- Begin function _ZL11k_bin_bcastIXadL_ZL6op_mulffEE6__halffS0_JPKfS2_S2_S2_S2_EEvPKT0_PKT1_PT2_iii15HIP_vector_typeIjLj3EESC_SC_SC_SC_iiiiiiiiiiiDpT3_
	.p2align	8
	.type	_ZL11k_bin_bcastIXadL_ZL6op_mulffEE6__halffS0_JPKfS2_S2_S2_S2_EEvPKT0_PKT1_PT2_iii15HIP_vector_typeIjLj3EESC_SC_SC_SC_iiiiiiiiiiiDpT3_,@function
_ZL11k_bin_bcastIXadL_ZL6op_mulffEE6__halffS0_JPKfS2_S2_S2_S2_EEvPKT0_PKT1_PT2_iii15HIP_vector_typeIjLj3EESC_SC_SC_SC_iiiiiiiiiiiDpT3_: ; @_ZL11k_bin_bcastIXadL_ZL6op_mulffEE6__halffS0_JPKfS2_S2_S2_S2_EEvPKT0_PKT1_PT2_iii15HIP_vector_typeIjLj3EESC_SC_SC_SC_iiiiiiiiiiiDpT3_
; %bb.0:
	s_clause 0x1
	s_load_b64 s[2:3], s[0:1], 0xc4
	s_load_b256 s[16:23], s[0:1], 0x18
	v_bfe_u32 v1, v0, 20, 10
	s_add_u32 s34, s0, 0xb8
	s_addc_u32 s35, s1, 0
	s_waitcnt lgkmcnt(0)
	s_and_b32 s3, s3, 0xffff
	s_delay_alu instid0(SALU_CYCLE_1) | instskip(SKIP_3) | instid1(VALU_DEP_3)
	v_mad_u64_u32 v[4:5], null, s15, s3, v[1:2]
	v_and_b32_e32 v2, 0x3ff, v0
	v_bfe_u32 v5, v0, 10, 10
	s_lshr_b32 s3, s2, 16
	v_mul_hi_u32 v1, v4, s19
	s_delay_alu instid0(VALU_DEP_1) | instskip(NEXT) | instid1(VALU_DEP_1)
	v_add_nc_u32_e32 v1, v4, v1
	v_lshrrev_b32_e32 v3, s20, v1
	s_and_b32 s20, s2, 0xffff
	s_delay_alu instid0(VALU_DEP_1) | instskip(SKIP_1) | instid1(VALU_DEP_2)
	v_mul_lo_u32 v6, v3, s21
	v_mad_u64_u32 v[0:1], null, s13, s20, v[2:3]
	v_mad_u64_u32 v[1:2], null, s14, s3, v[5:6]
	v_sub_nc_u32_e32 v4, v4, v6
	s_delay_alu instid0(VALU_DEP_3) | instskip(SKIP_1) | instid1(VALU_DEP_3)
	v_cmp_gt_u32_e32 vcc_lo, s16, v0
	v_cmp_gt_u32_e64 s3, s18, v3
	v_cmp_gt_u32_e64 s4, s21, v4
	;; [unrolled: 1-line block ×3, first 2 shown]
	s_delay_alu instid0(VALU_DEP_1)
	s_and_b32 s2, vcc_lo, s2
	s_delay_alu instid0(VALU_DEP_3) | instid1(SALU_CYCLE_1)
	s_and_b32 s2, s2, s3
	s_delay_alu instid0(VALU_DEP_2) | instid1(SALU_CYCLE_1)
	s_and_b32 s2, s2, s4
	s_delay_alu instid0(SALU_CYCLE_1)
	s_and_saveexec_b32 s3, s2
	s_cbranch_execz .LBB125_6
; %bb.1:
	v_cmp_gt_i32_e32 vcc_lo, s16, v0
	s_and_b32 exec_lo, exec_lo, vcc_lo
	s_cbranch_execz .LBB125_6
; %bb.2:
	s_clause 0x2
	s_load_b256 s[24:31], s[0:1], 0x3c
	s_load_b256 s[4:11], s[0:1], 0x60
	s_load_b128 s[12:15], s[0:1], 0x80
	s_waitcnt lgkmcnt(0)
	s_load_b32 s15, s[34:35], 0x0
	s_clause 0x4
	s_load_b32 s17, s[0:1], 0x5c
	s_load_b64 s[34:35], s[0:1], 0x0
	s_load_b32 s21, s[0:1], 0x38
	s_load_b64 s[18:19], s[0:1], 0x10
	s_load_b64 s[2:3], s[0:1], 0xb0
	v_mul_hi_u32 v2, s24, v1
	v_mul_hi_u32 v5, s27, v3
	;; [unrolled: 1-line block ×3, first 2 shown]
	v_mul_lo_u32 v9, v4, s10
	v_mul_lo_u32 v10, v3, s9
	;; [unrolled: 1-line block ×3, first 2 shown]
	v_mov_b32_e32 v6, 0
	v_mul_lo_u32 v12, v4, s6
	v_add_nc_u32_e32 v2, v1, v2
	v_add_nc_u32_e32 v5, v3, v5
	s_delay_alu instid0(VALU_DEP_4) | instskip(SKIP_1) | instid1(VALU_DEP_4)
	v_dual_mov_b32 v8, v6 :: v_dual_add_nc_u32 v7, v4, v7
	v_mul_lo_u32 v13, v3, s5
	v_lshrrev_b32_e32 v2, s25, v2
	s_delay_alu instid0(VALU_DEP_4) | instskip(NEXT) | instid1(VALU_DEP_4)
	v_lshrrev_b32_e32 v15, s28, v5
	v_lshrrev_b32_e32 v16, s31, v7
	v_add3_u32 v5, v10, v11, v9
	v_mul_lo_u32 v14, v1, s4
	v_mul_lo_u32 v9, v2, s26
	;; [unrolled: 1-line block ×3, first 2 shown]
	s_waitcnt lgkmcnt(0)
	v_mul_lo_u32 v11, v16, s17
	v_lshlrev_b64 v[5:6], 1, v[5:6]
	s_load_b256 s[24:31], s[0:1], 0x90
	s_cmp_lg_u64 s[34:35], 0
	v_mul_lo_u32 v2, s7, v0
	v_add3_u32 v7, v13, v14, v12
	v_sub_nc_u32_e32 v1, v1, v9
	v_sub_nc_u32_e32 v3, v3, v10
	;; [unrolled: 1-line block ×3, first 2 shown]
	v_add_co_u32 v9, vcc_lo, s34, v5
	v_add_co_ci_u32_e32 v5, vcc_lo, s35, v6, vcc_lo
	v_lshlrev_b64 v[7:8], 1, v[7:8]
	s_delay_alu instid0(VALU_DEP_4)
	v_mul_lo_u32 v10, v4, s14
	v_mul_lo_u32 v3, v3, s13
	;; [unrolled: 1-line block ×3, first 2 shown]
	s_cselect_b32 vcc_lo, -1, 0
	s_mul_i32 s4, s15, s20
	v_cndmask_b32_e32 v5, 0, v5, vcc_lo
	v_cndmask_b32_e32 v4, 0, v9, vcc_lo
	v_add_co_u32 v6, vcc_lo, s18, v7
	v_add_co_ci_u32_e32 v7, vcc_lo, s19, v8, vcc_lo
	s_delay_alu instid0(VALU_DEP_3)
	v_cmp_ne_u64_e32 vcc_lo, 0, v[4:5]
	v_add3_u32 v8, v3, v10, v1
	s_mov_b32 s5, 0
	s_mul_i32 s6, s4, s7
	s_sub_i32 s7, 0, s21
	s_branch .LBB125_4
.LBB125_3:                              ;   in Loop: Header=BB125_4 Depth=1
	s_or_b32 exec_lo, exec_lo, s1
	v_mul_hi_u32 v3, s22, v0
	v_add_nc_u32_e32 v2, s6, v2
	s_delay_alu instid0(VALU_DEP_2) | instskip(NEXT) | instid1(VALU_DEP_1)
	v_add_nc_u32_e32 v3, v0, v3
	v_lshrrev_b32_e32 v3, s23, v3
	s_delay_alu instid0(VALU_DEP_1) | instskip(NEXT) | instid1(VALU_DEP_1)
	v_mad_u64_u32 v[9:10], null, s7, v3, v[0:1]
	v_mul_lo_u32 v3, v9, s11
	s_delay_alu instid0(VALU_DEP_1) | instskip(NEXT) | instid1(VALU_DEP_1)
	v_add_co_u32 v9, s0, v3, v8
	v_add_co_ci_u32_e64 v10, null, 0, 0, s0
	s_delay_alu instid0(VALU_DEP_1) | instskip(SKIP_1) | instid1(VALU_DEP_1)
	v_lshlrev_b64 v[9:10], 2, v[9:10]
	s_waitcnt lgkmcnt(0)
	v_add_co_u32 v11, s0, s24, v9
	s_delay_alu instid0(VALU_DEP_1) | instskip(SKIP_1) | instid1(VALU_DEP_1)
	v_add_co_ci_u32_e64 v12, s0, s25, v10, s0
	v_add_co_u32 v13, s0, s26, v9
	v_add_co_ci_u32_e64 v14, s0, s27, v10, s0
	global_load_b32 v3, v[11:12], off
	v_add_co_u32 v11, s0, s28, v9
	s_delay_alu instid0(VALU_DEP_1) | instskip(SKIP_2) | instid1(VALU_DEP_1)
	v_add_co_ci_u32_e64 v12, s0, s29, v10, s0
	global_load_b32 v15, v[13:14], off
	v_add_co_u32 v13, s0, s30, v9
	v_add_co_ci_u32_e64 v14, s0, s31, v10, s0
	global_load_b32 v11, v[11:12], off
	v_add_co_u32 v9, s0, s2, v9
	s_delay_alu instid0(VALU_DEP_1)
	v_add_co_ci_u32_e64 v10, s0, s3, v10, s0
	global_load_b32 v12, v[13:14], off
	global_load_b32 v13, v[9:10], off
	s_waitcnt vmcnt(4)
	v_mul_f32_e32 v1, v1, v3
	s_waitcnt vmcnt(3)
	s_delay_alu instid0(VALU_DEP_1) | instskip(SKIP_2) | instid1(VALU_DEP_2)
	v_mul_f32_e32 v3, v1, v15
	v_ashrrev_i32_e32 v1, 31, v0
	s_waitcnt vmcnt(2)
	v_mul_f32_e32 v3, v3, v11
	s_delay_alu instid0(VALU_DEP_2) | instskip(SKIP_2) | instid1(VALU_DEP_3)
	v_lshlrev_b64 v[9:10], 1, v[0:1]
	v_add_nc_u32_e32 v0, s4, v0
	s_waitcnt vmcnt(1)
	v_mul_f32_e32 v1, v3, v12
	s_delay_alu instid0(VALU_DEP_2) | instskip(NEXT) | instid1(VALU_DEP_4)
	v_cmp_le_i32_e64 s0, s16, v0
	v_add_co_u32 v9, s1, v6, v9
	s_delay_alu instid0(VALU_DEP_1)
	v_add_co_ci_u32_e64 v10, s1, v7, v10, s1
	s_waitcnt vmcnt(0)
	v_fma_mixlo_f16 v1, v1, v13, 0
	s_or_b32 s5, s0, s5
	global_store_b16 v[9:10], v1, off
	s_and_not1_b32 exec_lo, exec_lo, s5
	s_cbranch_execz .LBB125_6
.LBB125_4:                              ; =>This Inner Loop Header: Depth=1
	v_mov_b32_e32 v1, 0
	s_and_saveexec_b32 s1, vcc_lo
	s_cbranch_execz .LBB125_3
; %bb.5:                                ;   in Loop: Header=BB125_4 Depth=1
	v_ashrrev_i32_e32 v3, 31, v2
	s_delay_alu instid0(VALU_DEP_1) | instskip(NEXT) | instid1(VALU_DEP_1)
	v_lshlrev_b64 v[9:10], 1, v[2:3]
	v_add_co_u32 v9, s0, v4, v9
	s_delay_alu instid0(VALU_DEP_1)
	v_add_co_ci_u32_e64 v10, s0, v5, v10, s0
	global_load_u16 v1, v[9:10], off
	s_waitcnt vmcnt(0)
	v_cvt_f32_f16_e32 v1, v1
	s_branch .LBB125_3
.LBB125_6:
	s_nop 0
	s_sendmsg sendmsg(MSG_DEALLOC_VGPRS)
	s_endpgm
	.section	.rodata,"a",@progbits
	.p2align	6, 0x0
	.amdhsa_kernel _ZL11k_bin_bcastIXadL_ZL6op_mulffEE6__halffS0_JPKfS2_S2_S2_S2_EEvPKT0_PKT1_PT2_iii15HIP_vector_typeIjLj3EESC_SC_SC_SC_iiiiiiiiiiiDpT3_
		.amdhsa_group_segment_fixed_size 0
		.amdhsa_private_segment_fixed_size 0
		.amdhsa_kernarg_size 440
		.amdhsa_user_sgpr_count 13
		.amdhsa_user_sgpr_dispatch_ptr 0
		.amdhsa_user_sgpr_queue_ptr 0
		.amdhsa_user_sgpr_kernarg_segment_ptr 1
		.amdhsa_user_sgpr_dispatch_id 0
		.amdhsa_user_sgpr_private_segment_size 0
		.amdhsa_wavefront_size32 1
		.amdhsa_uses_dynamic_stack 0
		.amdhsa_enable_private_segment 0
		.amdhsa_system_sgpr_workgroup_id_x 1
		.amdhsa_system_sgpr_workgroup_id_y 1
		.amdhsa_system_sgpr_workgroup_id_z 1
		.amdhsa_system_sgpr_workgroup_info 0
		.amdhsa_system_vgpr_workitem_id 2
		.amdhsa_next_free_vgpr 17
		.amdhsa_next_free_sgpr 36
		.amdhsa_reserve_vcc 1
		.amdhsa_float_round_mode_32 0
		.amdhsa_float_round_mode_16_64 0
		.amdhsa_float_denorm_mode_32 3
		.amdhsa_float_denorm_mode_16_64 3
		.amdhsa_dx10_clamp 1
		.amdhsa_ieee_mode 1
		.amdhsa_fp16_overflow 0
		.amdhsa_workgroup_processor_mode 1
		.amdhsa_memory_ordered 1
		.amdhsa_forward_progress 0
		.amdhsa_shared_vgpr_count 0
		.amdhsa_exception_fp_ieee_invalid_op 0
		.amdhsa_exception_fp_denorm_src 0
		.amdhsa_exception_fp_ieee_div_zero 0
		.amdhsa_exception_fp_ieee_overflow 0
		.amdhsa_exception_fp_ieee_underflow 0
		.amdhsa_exception_fp_ieee_inexact 0
		.amdhsa_exception_int_div_zero 0
	.end_amdhsa_kernel
	.section	.text._ZL11k_bin_bcastIXadL_ZL6op_mulffEE6__halffS0_JPKfS2_S2_S2_S2_EEvPKT0_PKT1_PT2_iii15HIP_vector_typeIjLj3EESC_SC_SC_SC_iiiiiiiiiiiDpT3_,"axG",@progbits,_ZL11k_bin_bcastIXadL_ZL6op_mulffEE6__halffS0_JPKfS2_S2_S2_S2_EEvPKT0_PKT1_PT2_iii15HIP_vector_typeIjLj3EESC_SC_SC_SC_iiiiiiiiiiiDpT3_,comdat
.Lfunc_end125:
	.size	_ZL11k_bin_bcastIXadL_ZL6op_mulffEE6__halffS0_JPKfS2_S2_S2_S2_EEvPKT0_PKT1_PT2_iii15HIP_vector_typeIjLj3EESC_SC_SC_SC_iiiiiiiiiiiDpT3_, .Lfunc_end125-_ZL11k_bin_bcastIXadL_ZL6op_mulffEE6__halffS0_JPKfS2_S2_S2_S2_EEvPKT0_PKT1_PT2_iii15HIP_vector_typeIjLj3EESC_SC_SC_SC_iiiiiiiiiiiDpT3_
                                        ; -- End function
	.section	.AMDGPU.csdata,"",@progbits
; Kernel info:
; codeLenInByte = 1028
; NumSgprs: 38
; NumVgprs: 17
; ScratchSize: 0
; MemoryBound: 0
; FloatMode: 240
; IeeeMode: 1
; LDSByteSize: 0 bytes/workgroup (compile time only)
; SGPRBlocks: 4
; VGPRBlocks: 2
; NumSGPRsForWavesPerEU: 38
; NumVGPRsForWavesPerEU: 17
; Occupancy: 16
; WaveLimiterHint : 1
; COMPUTE_PGM_RSRC2:SCRATCH_EN: 0
; COMPUTE_PGM_RSRC2:USER_SGPR: 13
; COMPUTE_PGM_RSRC2:TRAP_HANDLER: 0
; COMPUTE_PGM_RSRC2:TGID_X_EN: 1
; COMPUTE_PGM_RSRC2:TGID_Y_EN: 1
; COMPUTE_PGM_RSRC2:TGID_Z_EN: 1
; COMPUTE_PGM_RSRC2:TIDIG_COMP_CNT: 2
	.section	.text._ZL19k_bin_bcast_unravelIXadL_ZL6op_mulffEE6__halfffJPKfS2_S2_S2_S2_EEvPKT0_PKT1_PT2_15HIP_vector_typeIjLj3EESC_SC_jSC_SC_SC_SC_SC_SC_iiiiiiiiiiiDpT3_,"axG",@progbits,_ZL19k_bin_bcast_unravelIXadL_ZL6op_mulffEE6__halfffJPKfS2_S2_S2_S2_EEvPKT0_PKT1_PT2_15HIP_vector_typeIjLj3EESC_SC_jSC_SC_SC_SC_SC_SC_iiiiiiiiiiiDpT3_,comdat
	.globl	_ZL19k_bin_bcast_unravelIXadL_ZL6op_mulffEE6__halfffJPKfS2_S2_S2_S2_EEvPKT0_PKT1_PT2_15HIP_vector_typeIjLj3EESC_SC_jSC_SC_SC_SC_SC_SC_iiiiiiiiiiiDpT3_ ; -- Begin function _ZL19k_bin_bcast_unravelIXadL_ZL6op_mulffEE6__halfffJPKfS2_S2_S2_S2_EEvPKT0_PKT1_PT2_15HIP_vector_typeIjLj3EESC_SC_jSC_SC_SC_SC_SC_SC_iiiiiiiiiiiDpT3_
	.p2align	8
	.type	_ZL19k_bin_bcast_unravelIXadL_ZL6op_mulffEE6__halfffJPKfS2_S2_S2_S2_EEvPKT0_PKT1_PT2_15HIP_vector_typeIjLj3EESC_SC_jSC_SC_SC_SC_SC_SC_iiiiiiiiiiiDpT3_,@function
_ZL19k_bin_bcast_unravelIXadL_ZL6op_mulffEE6__halfffJPKfS2_S2_S2_S2_EEvPKT0_PKT1_PT2_15HIP_vector_typeIjLj3EESC_SC_jSC_SC_SC_SC_SC_SC_iiiiiiiiiiiDpT3_: ; @_ZL19k_bin_bcast_unravelIXadL_ZL6op_mulffEE6__halfffJPKfS2_S2_S2_S2_EEvPKT0_PKT1_PT2_15HIP_vector_typeIjLj3EESC_SC_jSC_SC_SC_SC_SC_SC_iiiiiiiiiiiDpT3_
; %bb.0:
	s_clause 0x1
	s_load_b32 s2, s[0:1], 0xec
	s_load_b256 s[4:11], s[0:1], 0x38
	s_waitcnt lgkmcnt(0)
	s_and_b32 s2, s2, 0xffff
	s_delay_alu instid0(SALU_CYCLE_1) | instskip(SKIP_3) | instid1(VALU_DEP_1)
	v_mad_u64_u32 v[2:3], null, s15, s2, v[0:1]
	s_clause 0x1
	s_load_b128 s[12:15], s[0:1], 0x18
	s_load_b32 s2, s[0:1], 0x2c
	v_mul_hi_u32 v0, v2, s6
	s_delay_alu instid0(VALU_DEP_1) | instskip(NEXT) | instid1(VALU_DEP_1)
	v_add_nc_u32_e32 v0, v2, v0
	v_lshrrev_b32_e32 v1, s7, v0
	s_delay_alu instid0(VALU_DEP_1) | instskip(NEXT) | instid1(VALU_DEP_1)
	v_mul_lo_u32 v0, v1, s8
	v_sub_nc_u32_e32 v0, v2, v0
	s_delay_alu instid0(VALU_DEP_1) | instskip(NEXT) | instid1(VALU_DEP_1)
	v_mul_hi_u32 v2, v0, s9
	v_add_nc_u32_e32 v2, v0, v2
	s_delay_alu instid0(VALU_DEP_1) | instskip(NEXT) | instid1(VALU_DEP_1)
	v_lshrrev_b32_e32 v2, s10, v2
	v_mul_lo_u32 v3, v2, s11
	v_cmp_gt_u32_e64 s3, s4, v2
	v_cmp_gt_u32_e64 s4, s5, v1
	s_delay_alu instid0(VALU_DEP_3) | instskip(SKIP_1) | instid1(VALU_DEP_1)
	v_sub_nc_u32_e32 v0, v0, v3
	s_waitcnt lgkmcnt(0)
	v_mul_hi_u32 v3, v0, s12
	s_delay_alu instid0(VALU_DEP_1) | instskip(NEXT) | instid1(VALU_DEP_1)
	v_add_nc_u32_e32 v3, v0, v3
	v_lshrrev_b32_e32 v3, s13, v3
	s_delay_alu instid0(VALU_DEP_1) | instskip(SKIP_1) | instid1(VALU_DEP_2)
	v_mul_lo_u32 v4, v3, s14
	v_cmp_gt_u32_e64 s2, s2, v3
	v_sub_nc_u32_e32 v0, v0, v4
	s_delay_alu instid0(VALU_DEP_1) | instskip(NEXT) | instid1(VALU_DEP_3)
	v_cmp_gt_u32_e32 vcc_lo, s14, v0
	s_and_b32 s2, vcc_lo, s2
	s_delay_alu instid0(SALU_CYCLE_1) | instskip(NEXT) | instid1(SALU_CYCLE_1)
	s_and_b32 s2, s2, s3
	s_and_b32 s2, s4, s2
	s_delay_alu instid0(SALU_CYCLE_1)
	s_and_saveexec_b32 s3, s2
	s_cbranch_execz .LBB126_5
; %bb.1:
	s_clause 0x4
	s_load_b64 s[2:3], s[0:1], 0x0
	s_load_b128 s[20:23], s[0:1], 0xa8
	s_load_b256 s[4:11], s[0:1], 0x88
	s_load_b128 s[24:27], s[0:1], 0x78
	s_load_b256 s[12:19], s[0:1], 0x58
	s_waitcnt lgkmcnt(0)
	s_cmp_eq_u64 s[2:3], 0
	s_cbranch_scc1 .LBB126_3
; %bb.2:
	v_mul_lo_u32 v4, v1, s10
	v_mul_lo_u32 v6, v2, s9
	;; [unrolled: 1-line block ×3, first 2 shown]
	v_mov_b32_e32 v5, 0
	s_delay_alu instid0(VALU_DEP_2) | instskip(NEXT) | instid1(VALU_DEP_1)
	v_add3_u32 v4, v6, v4, v7
	v_lshlrev_b64 v[6:7], 1, v[4:5]
	v_mul_lo_u32 v4, v0, s7
	s_delay_alu instid0(VALU_DEP_2) | instskip(NEXT) | instid1(VALU_DEP_3)
	v_add_co_u32 v6, vcc_lo, s2, v6
	v_add_co_ci_u32_e32 v7, vcc_lo, s3, v7, vcc_lo
	s_delay_alu instid0(VALU_DEP_3) | instskip(NEXT) | instid1(VALU_DEP_1)
	v_lshlrev_b64 v[4:5], 1, v[4:5]
	v_add_co_u32 v4, vcc_lo, v6, v4
	s_delay_alu instid0(VALU_DEP_2)
	v_add_co_ci_u32_e32 v5, vcc_lo, v7, v5, vcc_lo
	global_load_u16 v4, v[4:5], off
	s_waitcnt vmcnt(0)
	v_cvt_f32_f16_e32 v4, v4
	s_branch .LBB126_4
.LBB126_3:
	v_mov_b32_e32 v4, 0
.LBB126_4:
	v_mul_hi_u32 v5, s25, v1
	v_mul_hi_u32 v6, s18, v2
	;; [unrolled: 1-line block ×4, first 2 shown]
	s_load_b64 s[2:3], s[0:1], 0xd8
	s_delay_alu instid0(VALU_DEP_4) | instskip(NEXT) | instid1(VALU_DEP_4)
	v_add_nc_u32_e32 v5, v1, v5
	v_add_nc_u32_e32 v6, v2, v6
	s_delay_alu instid0(VALU_DEP_4) | instskip(NEXT) | instid1(VALU_DEP_4)
	v_add_nc_u32_e32 v7, v3, v7
	v_add_nc_u32_e32 v8, v0, v8
	s_delay_alu instid0(VALU_DEP_4) | instskip(NEXT) | instid1(VALU_DEP_4)
	v_lshrrev_b32_e32 v5, s26, v5
	v_lshrrev_b32_e32 v6, s19, v6
	s_delay_alu instid0(VALU_DEP_4) | instskip(NEXT) | instid1(VALU_DEP_4)
	v_lshrrev_b32_e32 v7, s16, v7
	v_lshrrev_b32_e32 v8, s13, v8
	s_delay_alu instid0(VALU_DEP_4) | instskip(NEXT) | instid1(VALU_DEP_4)
	v_mul_lo_u32 v5, v5, s27
	v_mul_lo_u32 v6, v6, s24
	s_delay_alu instid0(VALU_DEP_4) | instskip(NEXT) | instid1(VALU_DEP_4)
	v_mul_lo_u32 v7, v7, s17
	v_mul_lo_u32 v8, v8, s14
	s_delay_alu instid0(VALU_DEP_4) | instskip(NEXT) | instid1(VALU_DEP_4)
	v_sub_nc_u32_e32 v5, v1, v5
	v_sub_nc_u32_e32 v6, v2, v6
	s_delay_alu instid0(VALU_DEP_4) | instskip(NEXT) | instid1(VALU_DEP_4)
	v_sub_nc_u32_e32 v7, v3, v7
	v_sub_nc_u32_e32 v8, v0, v8
	v_mul_lo_u32 v1, v1, s6
	v_mul_lo_u32 v5, v5, s22
	;; [unrolled: 1-line block ×5, first 2 shown]
	s_clause 0x1
	s_load_b256 s[8:15], s[0:1], 0xb8
	s_load_b64 s[0:1], s[0:1], 0x10
	v_mul_lo_u32 v2, v2, s5
	s_delay_alu instid0(VALU_DEP_3) | instskip(NEXT) | instid1(VALU_DEP_3)
	v_add3_u32 v5, v6, v5, v7
	v_ashrrev_i32_e32 v6, 31, v8
	s_delay_alu instid0(VALU_DEP_2) | instskip(SKIP_1) | instid1(VALU_DEP_2)
	v_ashrrev_i32_e32 v7, 31, v5
	v_add_co_u32 v5, vcc_lo, v8, v5
	v_add_co_ci_u32_e32 v6, vcc_lo, v6, v7, vcc_lo
	s_delay_alu instid0(VALU_DEP_1) | instskip(SKIP_1) | instid1(VALU_DEP_1)
	v_lshlrev_b64 v[5:6], 2, v[5:6]
	s_waitcnt lgkmcnt(0)
	v_add_co_u32 v7, vcc_lo, s8, v5
	s_delay_alu instid0(VALU_DEP_2)
	v_add_co_ci_u32_e32 v8, vcc_lo, s9, v6, vcc_lo
	v_add_co_u32 v9, vcc_lo, s10, v5
	v_add_co_ci_u32_e32 v10, vcc_lo, s11, v6, vcc_lo
	global_load_b32 v11, v[7:8], off
	v_add_co_u32 v7, vcc_lo, s12, v5
	v_add_co_ci_u32_e32 v8, vcc_lo, s13, v6, vcc_lo
	global_load_b32 v12, v[9:10], off
	;; [unrolled: 3-line block ×4, first 2 shown]
	global_load_b32 v5, v[5:6], off
	v_mul_lo_u32 v6, v3, s4
	v_mov_b32_e32 v3, 0
	s_delay_alu instid0(VALU_DEP_2) | instskip(NEXT) | instid1(VALU_DEP_2)
	v_add3_u32 v2, v2, v1, v6
	v_mov_b32_e32 v1, v3
	s_delay_alu instid0(VALU_DEP_2) | instskip(NEXT) | instid1(VALU_DEP_2)
	v_lshlrev_b64 v[2:3], 2, v[2:3]
	v_lshlrev_b64 v[0:1], 2, v[0:1]
	s_delay_alu instid0(VALU_DEP_2) | instskip(NEXT) | instid1(VALU_DEP_3)
	v_add_co_u32 v2, vcc_lo, s0, v2
	v_add_co_ci_u32_e32 v3, vcc_lo, s1, v3, vcc_lo
	s_delay_alu instid0(VALU_DEP_2) | instskip(NEXT) | instid1(VALU_DEP_2)
	v_add_co_u32 v0, vcc_lo, v2, v0
	v_add_co_ci_u32_e32 v1, vcc_lo, v3, v1, vcc_lo
	s_waitcnt vmcnt(4)
	v_mul_f32_e32 v4, v4, v11
	s_waitcnt vmcnt(3)
	s_delay_alu instid0(VALU_DEP_1) | instskip(SKIP_1) | instid1(VALU_DEP_1)
	v_mul_f32_e32 v4, v4, v12
	s_waitcnt vmcnt(2)
	v_mul_f32_e32 v4, v4, v7
	s_waitcnt vmcnt(1)
	s_delay_alu instid0(VALU_DEP_1) | instskip(SKIP_1) | instid1(VALU_DEP_1)
	v_mul_f32_e32 v4, v4, v8
	s_waitcnt vmcnt(0)
	v_mul_f32_e32 v4, v4, v5
	global_store_b32 v[0:1], v4, off
.LBB126_5:
	s_nop 0
	s_sendmsg sendmsg(MSG_DEALLOC_VGPRS)
	s_endpgm
	.section	.rodata,"a",@progbits
	.p2align	6, 0x0
	.amdhsa_kernel _ZL19k_bin_bcast_unravelIXadL_ZL6op_mulffEE6__halfffJPKfS2_S2_S2_S2_EEvPKT0_PKT1_PT2_15HIP_vector_typeIjLj3EESC_SC_jSC_SC_SC_SC_SC_SC_iiiiiiiiiiiDpT3_
		.amdhsa_group_segment_fixed_size 0
		.amdhsa_private_segment_fixed_size 0
		.amdhsa_kernarg_size 480
		.amdhsa_user_sgpr_count 15
		.amdhsa_user_sgpr_dispatch_ptr 0
		.amdhsa_user_sgpr_queue_ptr 0
		.amdhsa_user_sgpr_kernarg_segment_ptr 1
		.amdhsa_user_sgpr_dispatch_id 0
		.amdhsa_user_sgpr_private_segment_size 0
		.amdhsa_wavefront_size32 1
		.amdhsa_uses_dynamic_stack 0
		.amdhsa_enable_private_segment 0
		.amdhsa_system_sgpr_workgroup_id_x 1
		.amdhsa_system_sgpr_workgroup_id_y 0
		.amdhsa_system_sgpr_workgroup_id_z 0
		.amdhsa_system_sgpr_workgroup_info 0
		.amdhsa_system_vgpr_workitem_id 0
		.amdhsa_next_free_vgpr 13
		.amdhsa_next_free_sgpr 28
		.amdhsa_reserve_vcc 1
		.amdhsa_float_round_mode_32 0
		.amdhsa_float_round_mode_16_64 0
		.amdhsa_float_denorm_mode_32 3
		.amdhsa_float_denorm_mode_16_64 3
		.amdhsa_dx10_clamp 1
		.amdhsa_ieee_mode 1
		.amdhsa_fp16_overflow 0
		.amdhsa_workgroup_processor_mode 1
		.amdhsa_memory_ordered 1
		.amdhsa_forward_progress 0
		.amdhsa_shared_vgpr_count 0
		.amdhsa_exception_fp_ieee_invalid_op 0
		.amdhsa_exception_fp_denorm_src 0
		.amdhsa_exception_fp_ieee_div_zero 0
		.amdhsa_exception_fp_ieee_overflow 0
		.amdhsa_exception_fp_ieee_underflow 0
		.amdhsa_exception_fp_ieee_inexact 0
		.amdhsa_exception_int_div_zero 0
	.end_amdhsa_kernel
	.section	.text._ZL19k_bin_bcast_unravelIXadL_ZL6op_mulffEE6__halfffJPKfS2_S2_S2_S2_EEvPKT0_PKT1_PT2_15HIP_vector_typeIjLj3EESC_SC_jSC_SC_SC_SC_SC_SC_iiiiiiiiiiiDpT3_,"axG",@progbits,_ZL19k_bin_bcast_unravelIXadL_ZL6op_mulffEE6__halfffJPKfS2_S2_S2_S2_EEvPKT0_PKT1_PT2_15HIP_vector_typeIjLj3EESC_SC_jSC_SC_SC_SC_SC_SC_iiiiiiiiiiiDpT3_,comdat
.Lfunc_end126:
	.size	_ZL19k_bin_bcast_unravelIXadL_ZL6op_mulffEE6__halfffJPKfS2_S2_S2_S2_EEvPKT0_PKT1_PT2_15HIP_vector_typeIjLj3EESC_SC_jSC_SC_SC_SC_SC_SC_iiiiiiiiiiiDpT3_, .Lfunc_end126-_ZL19k_bin_bcast_unravelIXadL_ZL6op_mulffEE6__halfffJPKfS2_S2_S2_S2_EEvPKT0_PKT1_PT2_15HIP_vector_typeIjLj3EESC_SC_jSC_SC_SC_SC_SC_SC_iiiiiiiiiiiDpT3_
                                        ; -- End function
	.section	.AMDGPU.csdata,"",@progbits
; Kernel info:
; codeLenInByte = 944
; NumSgprs: 30
; NumVgprs: 13
; ScratchSize: 0
; MemoryBound: 0
; FloatMode: 240
; IeeeMode: 1
; LDSByteSize: 0 bytes/workgroup (compile time only)
; SGPRBlocks: 3
; VGPRBlocks: 1
; NumSGPRsForWavesPerEU: 30
; NumVGPRsForWavesPerEU: 13
; Occupancy: 16
; WaveLimiterHint : 1
; COMPUTE_PGM_RSRC2:SCRATCH_EN: 0
; COMPUTE_PGM_RSRC2:USER_SGPR: 15
; COMPUTE_PGM_RSRC2:TRAP_HANDLER: 0
; COMPUTE_PGM_RSRC2:TGID_X_EN: 1
; COMPUTE_PGM_RSRC2:TGID_Y_EN: 0
; COMPUTE_PGM_RSRC2:TGID_Z_EN: 0
; COMPUTE_PGM_RSRC2:TIDIG_COMP_CNT: 0
	.section	.text._ZL11k_bin_bcastIXadL_ZL6op_mulffEE6__halfffJPKfS2_S2_S2_S2_EEvPKT0_PKT1_PT2_iii15HIP_vector_typeIjLj3EESC_SC_SC_SC_iiiiiiiiiiiDpT3_,"axG",@progbits,_ZL11k_bin_bcastIXadL_ZL6op_mulffEE6__halfffJPKfS2_S2_S2_S2_EEvPKT0_PKT1_PT2_iii15HIP_vector_typeIjLj3EESC_SC_SC_SC_iiiiiiiiiiiDpT3_,comdat
	.globl	_ZL11k_bin_bcastIXadL_ZL6op_mulffEE6__halfffJPKfS2_S2_S2_S2_EEvPKT0_PKT1_PT2_iii15HIP_vector_typeIjLj3EESC_SC_SC_SC_iiiiiiiiiiiDpT3_ ; -- Begin function _ZL11k_bin_bcastIXadL_ZL6op_mulffEE6__halfffJPKfS2_S2_S2_S2_EEvPKT0_PKT1_PT2_iii15HIP_vector_typeIjLj3EESC_SC_SC_SC_iiiiiiiiiiiDpT3_
	.p2align	8
	.type	_ZL11k_bin_bcastIXadL_ZL6op_mulffEE6__halfffJPKfS2_S2_S2_S2_EEvPKT0_PKT1_PT2_iii15HIP_vector_typeIjLj3EESC_SC_SC_SC_iiiiiiiiiiiDpT3_,@function
_ZL11k_bin_bcastIXadL_ZL6op_mulffEE6__halfffJPKfS2_S2_S2_S2_EEvPKT0_PKT1_PT2_iii15HIP_vector_typeIjLj3EESC_SC_SC_SC_iiiiiiiiiiiDpT3_: ; @_ZL11k_bin_bcastIXadL_ZL6op_mulffEE6__halfffJPKfS2_S2_S2_S2_EEvPKT0_PKT1_PT2_iii15HIP_vector_typeIjLj3EESC_SC_SC_SC_iiiiiiiiiiiDpT3_
; %bb.0:
	s_clause 0x1
	s_load_b64 s[2:3], s[0:1], 0xc4
	s_load_b256 s[16:23], s[0:1], 0x18
	v_bfe_u32 v1, v0, 20, 10
	s_add_u32 s34, s0, 0xb8
	s_addc_u32 s35, s1, 0
	s_waitcnt lgkmcnt(0)
	s_and_b32 s3, s3, 0xffff
	s_delay_alu instid0(SALU_CYCLE_1) | instskip(SKIP_3) | instid1(VALU_DEP_3)
	v_mad_u64_u32 v[4:5], null, s15, s3, v[1:2]
	v_and_b32_e32 v2, 0x3ff, v0
	v_bfe_u32 v5, v0, 10, 10
	s_lshr_b32 s3, s2, 16
	v_mul_hi_u32 v1, v4, s19
	s_delay_alu instid0(VALU_DEP_1) | instskip(NEXT) | instid1(VALU_DEP_1)
	v_add_nc_u32_e32 v1, v4, v1
	v_lshrrev_b32_e32 v3, s20, v1
	s_and_b32 s20, s2, 0xffff
	s_delay_alu instid0(VALU_DEP_1) | instskip(SKIP_1) | instid1(VALU_DEP_2)
	v_mul_lo_u32 v6, v3, s21
	v_mad_u64_u32 v[0:1], null, s13, s20, v[2:3]
	v_mad_u64_u32 v[1:2], null, s14, s3, v[5:6]
	v_sub_nc_u32_e32 v4, v4, v6
	s_delay_alu instid0(VALU_DEP_3) | instskip(SKIP_1) | instid1(VALU_DEP_3)
	v_cmp_gt_u32_e32 vcc_lo, s16, v0
	v_cmp_gt_u32_e64 s3, s18, v3
	v_cmp_gt_u32_e64 s4, s21, v4
	;; [unrolled: 1-line block ×3, first 2 shown]
	s_delay_alu instid0(VALU_DEP_1)
	s_and_b32 s2, vcc_lo, s2
	s_delay_alu instid0(VALU_DEP_3) | instid1(SALU_CYCLE_1)
	s_and_b32 s2, s2, s3
	s_delay_alu instid0(VALU_DEP_2) | instid1(SALU_CYCLE_1)
	s_and_b32 s2, s2, s4
	s_delay_alu instid0(SALU_CYCLE_1)
	s_and_saveexec_b32 s3, s2
	s_cbranch_execz .LBB127_6
; %bb.1:
	v_cmp_gt_i32_e32 vcc_lo, s16, v0
	s_and_b32 exec_lo, exec_lo, vcc_lo
	s_cbranch_execz .LBB127_6
; %bb.2:
	s_clause 0x2
	s_load_b256 s[24:31], s[0:1], 0x3c
	s_load_b256 s[4:11], s[0:1], 0x60
	s_load_b128 s[12:15], s[0:1], 0x80
	s_waitcnt lgkmcnt(0)
	s_load_b32 s15, s[34:35], 0x0
	s_clause 0x4
	s_load_b32 s17, s[0:1], 0x5c
	s_load_b64 s[34:35], s[0:1], 0x0
	s_load_b32 s21, s[0:1], 0x38
	s_load_b64 s[18:19], s[0:1], 0x10
	s_load_b64 s[2:3], s[0:1], 0xb0
	v_mul_hi_u32 v2, s24, v1
	v_mul_hi_u32 v5, s27, v3
	;; [unrolled: 1-line block ×3, first 2 shown]
	v_mul_lo_u32 v9, v4, s10
	v_mul_lo_u32 v10, v3, s9
	;; [unrolled: 1-line block ×3, first 2 shown]
	v_mov_b32_e32 v6, 0
	v_mul_lo_u32 v12, v4, s6
	v_add_nc_u32_e32 v2, v1, v2
	v_add_nc_u32_e32 v5, v3, v5
	s_delay_alu instid0(VALU_DEP_4) | instskip(SKIP_1) | instid1(VALU_DEP_4)
	v_dual_mov_b32 v8, v6 :: v_dual_add_nc_u32 v7, v4, v7
	v_mul_lo_u32 v13, v3, s5
	v_lshrrev_b32_e32 v2, s25, v2
	s_delay_alu instid0(VALU_DEP_4) | instskip(NEXT) | instid1(VALU_DEP_4)
	v_lshrrev_b32_e32 v15, s28, v5
	v_lshrrev_b32_e32 v16, s31, v7
	v_add3_u32 v5, v10, v11, v9
	v_mul_lo_u32 v14, v1, s4
	v_mul_lo_u32 v9, v2, s26
	;; [unrolled: 1-line block ×3, first 2 shown]
	s_waitcnt lgkmcnt(0)
	v_mul_lo_u32 v11, v16, s17
	v_lshlrev_b64 v[5:6], 1, v[5:6]
	s_load_b256 s[24:31], s[0:1], 0x90
	s_cmp_lg_u64 s[34:35], 0
	v_mul_lo_u32 v2, s7, v0
	v_add3_u32 v7, v13, v14, v12
	v_sub_nc_u32_e32 v1, v1, v9
	v_sub_nc_u32_e32 v3, v3, v10
	;; [unrolled: 1-line block ×3, first 2 shown]
	v_add_co_u32 v9, vcc_lo, s34, v5
	v_add_co_ci_u32_e32 v5, vcc_lo, s35, v6, vcc_lo
	v_lshlrev_b64 v[7:8], 2, v[7:8]
	s_delay_alu instid0(VALU_DEP_4)
	v_mul_lo_u32 v10, v4, s14
	v_mul_lo_u32 v3, v3, s13
	v_mul_lo_u32 v1, v1, s12
	s_cselect_b32 vcc_lo, -1, 0
	s_mul_i32 s4, s15, s20
	v_cndmask_b32_e32 v5, 0, v5, vcc_lo
	v_cndmask_b32_e32 v4, 0, v9, vcc_lo
	v_add_co_u32 v6, vcc_lo, s18, v7
	v_add_co_ci_u32_e32 v7, vcc_lo, s19, v8, vcc_lo
	s_delay_alu instid0(VALU_DEP_3)
	v_cmp_ne_u64_e32 vcc_lo, 0, v[4:5]
	v_add3_u32 v8, v3, v10, v1
	s_mov_b32 s5, 0
	s_mul_i32 s6, s4, s7
	s_sub_i32 s7, 0, s21
	s_branch .LBB127_4
.LBB127_3:                              ;   in Loop: Header=BB127_4 Depth=1
	s_or_b32 exec_lo, exec_lo, s1
	v_mul_hi_u32 v3, s22, v0
	v_add_nc_u32_e32 v2, s6, v2
	s_delay_alu instid0(VALU_DEP_2) | instskip(NEXT) | instid1(VALU_DEP_1)
	v_add_nc_u32_e32 v3, v0, v3
	v_lshrrev_b32_e32 v3, s23, v3
	s_delay_alu instid0(VALU_DEP_1) | instskip(NEXT) | instid1(VALU_DEP_1)
	v_mad_u64_u32 v[9:10], null, s7, v3, v[0:1]
	v_mul_lo_u32 v3, v9, s11
	s_delay_alu instid0(VALU_DEP_1) | instskip(NEXT) | instid1(VALU_DEP_1)
	v_add_co_u32 v9, s0, v3, v8
	v_add_co_ci_u32_e64 v10, null, 0, 0, s0
	s_delay_alu instid0(VALU_DEP_1) | instskip(SKIP_1) | instid1(VALU_DEP_1)
	v_lshlrev_b64 v[9:10], 2, v[9:10]
	s_waitcnt lgkmcnt(0)
	v_add_co_u32 v11, s0, s24, v9
	s_delay_alu instid0(VALU_DEP_1) | instskip(SKIP_1) | instid1(VALU_DEP_1)
	v_add_co_ci_u32_e64 v12, s0, s25, v10, s0
	v_add_co_u32 v13, s0, s26, v9
	v_add_co_ci_u32_e64 v14, s0, s27, v10, s0
	global_load_b32 v3, v[11:12], off
	v_add_co_u32 v11, s0, s28, v9
	s_delay_alu instid0(VALU_DEP_1) | instskip(SKIP_2) | instid1(VALU_DEP_1)
	v_add_co_ci_u32_e64 v12, s0, s29, v10, s0
	global_load_b32 v15, v[13:14], off
	v_add_co_u32 v13, s0, s30, v9
	v_add_co_ci_u32_e64 v14, s0, s31, v10, s0
	global_load_b32 v11, v[11:12], off
	v_add_co_u32 v9, s0, s2, v9
	s_delay_alu instid0(VALU_DEP_1)
	v_add_co_ci_u32_e64 v10, s0, s3, v10, s0
	global_load_b32 v12, v[13:14], off
	global_load_b32 v13, v[9:10], off
	s_waitcnt vmcnt(4)
	v_mul_f32_e32 v1, v1, v3
	s_waitcnt vmcnt(3)
	s_delay_alu instid0(VALU_DEP_1) | instskip(SKIP_2) | instid1(VALU_DEP_2)
	v_mul_f32_e32 v3, v1, v15
	v_ashrrev_i32_e32 v1, 31, v0
	s_waitcnt vmcnt(2)
	v_mul_f32_e32 v3, v3, v11
	s_delay_alu instid0(VALU_DEP_2) | instskip(SKIP_2) | instid1(VALU_DEP_3)
	v_lshlrev_b64 v[9:10], 2, v[0:1]
	v_add_nc_u32_e32 v0, s4, v0
	s_waitcnt vmcnt(1)
	v_mul_f32_e32 v1, v3, v12
	s_delay_alu instid0(VALU_DEP_2) | instskip(NEXT) | instid1(VALU_DEP_4)
	v_cmp_le_i32_e64 s0, s16, v0
	v_add_co_u32 v9, s1, v6, v9
	s_delay_alu instid0(VALU_DEP_1)
	v_add_co_ci_u32_e64 v10, s1, v7, v10, s1
	s_waitcnt vmcnt(0)
	v_mul_f32_e32 v1, v1, v13
	s_or_b32 s5, s0, s5
	global_store_b32 v[9:10], v1, off
	s_and_not1_b32 exec_lo, exec_lo, s5
	s_cbranch_execz .LBB127_6
.LBB127_4:                              ; =>This Inner Loop Header: Depth=1
	v_mov_b32_e32 v1, 0
	s_and_saveexec_b32 s1, vcc_lo
	s_cbranch_execz .LBB127_3
; %bb.5:                                ;   in Loop: Header=BB127_4 Depth=1
	v_ashrrev_i32_e32 v3, 31, v2
	s_delay_alu instid0(VALU_DEP_1) | instskip(NEXT) | instid1(VALU_DEP_1)
	v_lshlrev_b64 v[9:10], 1, v[2:3]
	v_add_co_u32 v9, s0, v4, v9
	s_delay_alu instid0(VALU_DEP_1)
	v_add_co_ci_u32_e64 v10, s0, v5, v10, s0
	global_load_u16 v1, v[9:10], off
	s_waitcnt vmcnt(0)
	v_cvt_f32_f16_e32 v1, v1
	s_branch .LBB127_3
.LBB127_6:
	s_nop 0
	s_sendmsg sendmsg(MSG_DEALLOC_VGPRS)
	s_endpgm
	.section	.rodata,"a",@progbits
	.p2align	6, 0x0
	.amdhsa_kernel _ZL11k_bin_bcastIXadL_ZL6op_mulffEE6__halfffJPKfS2_S2_S2_S2_EEvPKT0_PKT1_PT2_iii15HIP_vector_typeIjLj3EESC_SC_SC_SC_iiiiiiiiiiiDpT3_
		.amdhsa_group_segment_fixed_size 0
		.amdhsa_private_segment_fixed_size 0
		.amdhsa_kernarg_size 440
		.amdhsa_user_sgpr_count 13
		.amdhsa_user_sgpr_dispatch_ptr 0
		.amdhsa_user_sgpr_queue_ptr 0
		.amdhsa_user_sgpr_kernarg_segment_ptr 1
		.amdhsa_user_sgpr_dispatch_id 0
		.amdhsa_user_sgpr_private_segment_size 0
		.amdhsa_wavefront_size32 1
		.amdhsa_uses_dynamic_stack 0
		.amdhsa_enable_private_segment 0
		.amdhsa_system_sgpr_workgroup_id_x 1
		.amdhsa_system_sgpr_workgroup_id_y 1
		.amdhsa_system_sgpr_workgroup_id_z 1
		.amdhsa_system_sgpr_workgroup_info 0
		.amdhsa_system_vgpr_workitem_id 2
		.amdhsa_next_free_vgpr 17
		.amdhsa_next_free_sgpr 36
		.amdhsa_reserve_vcc 1
		.amdhsa_float_round_mode_32 0
		.amdhsa_float_round_mode_16_64 0
		.amdhsa_float_denorm_mode_32 3
		.amdhsa_float_denorm_mode_16_64 3
		.amdhsa_dx10_clamp 1
		.amdhsa_ieee_mode 1
		.amdhsa_fp16_overflow 0
		.amdhsa_workgroup_processor_mode 1
		.amdhsa_memory_ordered 1
		.amdhsa_forward_progress 0
		.amdhsa_shared_vgpr_count 0
		.amdhsa_exception_fp_ieee_invalid_op 0
		.amdhsa_exception_fp_denorm_src 0
		.amdhsa_exception_fp_ieee_div_zero 0
		.amdhsa_exception_fp_ieee_overflow 0
		.amdhsa_exception_fp_ieee_underflow 0
		.amdhsa_exception_fp_ieee_inexact 0
		.amdhsa_exception_int_div_zero 0
	.end_amdhsa_kernel
	.section	.text._ZL11k_bin_bcastIXadL_ZL6op_mulffEE6__halfffJPKfS2_S2_S2_S2_EEvPKT0_PKT1_PT2_iii15HIP_vector_typeIjLj3EESC_SC_SC_SC_iiiiiiiiiiiDpT3_,"axG",@progbits,_ZL11k_bin_bcastIXadL_ZL6op_mulffEE6__halfffJPKfS2_S2_S2_S2_EEvPKT0_PKT1_PT2_iii15HIP_vector_typeIjLj3EESC_SC_SC_SC_iiiiiiiiiiiDpT3_,comdat
.Lfunc_end127:
	.size	_ZL11k_bin_bcastIXadL_ZL6op_mulffEE6__halfffJPKfS2_S2_S2_S2_EEvPKT0_PKT1_PT2_iii15HIP_vector_typeIjLj3EESC_SC_SC_SC_iiiiiiiiiiiDpT3_, .Lfunc_end127-_ZL11k_bin_bcastIXadL_ZL6op_mulffEE6__halfffJPKfS2_S2_S2_S2_EEvPKT0_PKT1_PT2_iii15HIP_vector_typeIjLj3EESC_SC_SC_SC_iiiiiiiiiiiDpT3_
                                        ; -- End function
	.section	.AMDGPU.csdata,"",@progbits
; Kernel info:
; codeLenInByte = 1024
; NumSgprs: 38
; NumVgprs: 17
; ScratchSize: 0
; MemoryBound: 0
; FloatMode: 240
; IeeeMode: 1
; LDSByteSize: 0 bytes/workgroup (compile time only)
; SGPRBlocks: 4
; VGPRBlocks: 2
; NumSGPRsForWavesPerEU: 38
; NumVGPRsForWavesPerEU: 17
; Occupancy: 16
; WaveLimiterHint : 1
; COMPUTE_PGM_RSRC2:SCRATCH_EN: 0
; COMPUTE_PGM_RSRC2:USER_SGPR: 13
; COMPUTE_PGM_RSRC2:TRAP_HANDLER: 0
; COMPUTE_PGM_RSRC2:TGID_X_EN: 1
; COMPUTE_PGM_RSRC2:TGID_Y_EN: 1
; COMPUTE_PGM_RSRC2:TGID_Z_EN: 1
; COMPUTE_PGM_RSRC2:TIDIG_COMP_CNT: 2
	.section	.text._ZL19k_bin_bcast_unravelIXadL_ZL6op_mulffEEfffJPKfS1_S1_S1_S1_S1_EEvPKT0_PKT1_PT2_15HIP_vector_typeIjLj3EESB_SB_jSB_SB_SB_SB_SB_SB_iiiiiiiiiiiDpT3_,"axG",@progbits,_ZL19k_bin_bcast_unravelIXadL_ZL6op_mulffEEfffJPKfS1_S1_S1_S1_S1_EEvPKT0_PKT1_PT2_15HIP_vector_typeIjLj3EESB_SB_jSB_SB_SB_SB_SB_SB_iiiiiiiiiiiDpT3_,comdat
	.globl	_ZL19k_bin_bcast_unravelIXadL_ZL6op_mulffEEfffJPKfS1_S1_S1_S1_S1_EEvPKT0_PKT1_PT2_15HIP_vector_typeIjLj3EESB_SB_jSB_SB_SB_SB_SB_SB_iiiiiiiiiiiDpT3_ ; -- Begin function _ZL19k_bin_bcast_unravelIXadL_ZL6op_mulffEEfffJPKfS1_S1_S1_S1_S1_EEvPKT0_PKT1_PT2_15HIP_vector_typeIjLj3EESB_SB_jSB_SB_SB_SB_SB_SB_iiiiiiiiiiiDpT3_
	.p2align	8
	.type	_ZL19k_bin_bcast_unravelIXadL_ZL6op_mulffEEfffJPKfS1_S1_S1_S1_S1_EEvPKT0_PKT1_PT2_15HIP_vector_typeIjLj3EESB_SB_jSB_SB_SB_SB_SB_SB_iiiiiiiiiiiDpT3_,@function
_ZL19k_bin_bcast_unravelIXadL_ZL6op_mulffEEfffJPKfS1_S1_S1_S1_S1_EEvPKT0_PKT1_PT2_15HIP_vector_typeIjLj3EESB_SB_jSB_SB_SB_SB_SB_SB_iiiiiiiiiiiDpT3_: ; @_ZL19k_bin_bcast_unravelIXadL_ZL6op_mulffEEfffJPKfS1_S1_S1_S1_S1_EEvPKT0_PKT1_PT2_15HIP_vector_typeIjLj3EESB_SB_jSB_SB_SB_SB_SB_SB_iiiiiiiiiiiDpT3_
; %bb.0:
	s_clause 0x1
	s_load_b32 s2, s[0:1], 0xf4
	s_load_b256 s[4:11], s[0:1], 0x38
	s_waitcnt lgkmcnt(0)
	s_and_b32 s2, s2, 0xffff
	s_delay_alu instid0(SALU_CYCLE_1) | instskip(SKIP_3) | instid1(VALU_DEP_1)
	v_mad_u64_u32 v[2:3], null, s15, s2, v[0:1]
	s_clause 0x1
	s_load_b128 s[12:15], s[0:1], 0x18
	s_load_b32 s2, s[0:1], 0x2c
	v_mul_hi_u32 v0, v2, s6
	s_delay_alu instid0(VALU_DEP_1) | instskip(NEXT) | instid1(VALU_DEP_1)
	v_add_nc_u32_e32 v0, v2, v0
	v_lshrrev_b32_e32 v1, s7, v0
	s_delay_alu instid0(VALU_DEP_1) | instskip(NEXT) | instid1(VALU_DEP_1)
	v_mul_lo_u32 v0, v1, s8
	v_sub_nc_u32_e32 v0, v2, v0
	s_delay_alu instid0(VALU_DEP_1) | instskip(NEXT) | instid1(VALU_DEP_1)
	v_mul_hi_u32 v2, v0, s9
	v_add_nc_u32_e32 v2, v0, v2
	s_delay_alu instid0(VALU_DEP_1) | instskip(NEXT) | instid1(VALU_DEP_1)
	v_lshrrev_b32_e32 v2, s10, v2
	v_mul_lo_u32 v3, v2, s11
	v_cmp_gt_u32_e64 s3, s4, v2
	v_cmp_gt_u32_e64 s4, s5, v1
	s_delay_alu instid0(VALU_DEP_3) | instskip(SKIP_1) | instid1(VALU_DEP_1)
	v_sub_nc_u32_e32 v0, v0, v3
	s_waitcnt lgkmcnt(0)
	v_mul_hi_u32 v3, v0, s12
	s_delay_alu instid0(VALU_DEP_1) | instskip(NEXT) | instid1(VALU_DEP_1)
	v_add_nc_u32_e32 v3, v0, v3
	v_lshrrev_b32_e32 v3, s13, v3
	s_delay_alu instid0(VALU_DEP_1) | instskip(SKIP_1) | instid1(VALU_DEP_2)
	v_mul_lo_u32 v4, v3, s14
	v_cmp_gt_u32_e64 s2, s2, v3
	v_sub_nc_u32_e32 v0, v0, v4
	s_delay_alu instid0(VALU_DEP_1) | instskip(NEXT) | instid1(VALU_DEP_3)
	v_cmp_gt_u32_e32 vcc_lo, s14, v0
	s_and_b32 s2, vcc_lo, s2
	s_delay_alu instid0(SALU_CYCLE_1) | instskip(NEXT) | instid1(SALU_CYCLE_1)
	s_and_b32 s2, s2, s3
	s_and_b32 s2, s4, s2
	s_delay_alu instid0(SALU_CYCLE_1)
	s_and_saveexec_b32 s3, s2
	s_cbranch_execz .LBB128_5
; %bb.1:
	s_clause 0x4
	s_load_b64 s[2:3], s[0:1], 0x0
	s_load_b128 s[20:23], s[0:1], 0xa8
	s_load_b256 s[4:11], s[0:1], 0x88
	s_load_b128 s[24:27], s[0:1], 0x78
	s_load_b256 s[12:19], s[0:1], 0x58
	s_waitcnt lgkmcnt(0)
	s_cmp_eq_u64 s[2:3], 0
	s_cbranch_scc1 .LBB128_3
; %bb.2:
	v_mul_lo_u32 v4, v1, s10
	v_mul_lo_u32 v6, v2, s9
	;; [unrolled: 1-line block ×3, first 2 shown]
	v_mov_b32_e32 v5, 0
	s_delay_alu instid0(VALU_DEP_2) | instskip(NEXT) | instid1(VALU_DEP_1)
	v_add3_u32 v4, v6, v4, v7
	v_lshlrev_b64 v[6:7], 2, v[4:5]
	v_mul_lo_u32 v4, v0, s7
	s_delay_alu instid0(VALU_DEP_2) | instskip(NEXT) | instid1(VALU_DEP_3)
	v_add_co_u32 v6, vcc_lo, s2, v6
	v_add_co_ci_u32_e32 v7, vcc_lo, s3, v7, vcc_lo
	s_delay_alu instid0(VALU_DEP_3) | instskip(NEXT) | instid1(VALU_DEP_1)
	v_lshlrev_b64 v[4:5], 2, v[4:5]
	v_add_co_u32 v4, vcc_lo, v6, v4
	s_delay_alu instid0(VALU_DEP_2)
	v_add_co_ci_u32_e32 v5, vcc_lo, v7, v5, vcc_lo
	global_load_b32 v4, v[4:5], off
	s_branch .LBB128_4
.LBB128_3:
	v_mov_b32_e32 v4, 0
.LBB128_4:
	v_mul_hi_u32 v5, s25, v1
	v_mul_hi_u32 v6, s18, v2
	;; [unrolled: 1-line block ×4, first 2 shown]
	s_delay_alu instid0(VALU_DEP_4) | instskip(NEXT) | instid1(VALU_DEP_4)
	v_add_nc_u32_e32 v5, v1, v5
	v_add_nc_u32_e32 v6, v2, v6
	s_delay_alu instid0(VALU_DEP_4) | instskip(NEXT) | instid1(VALU_DEP_4)
	v_add_nc_u32_e32 v7, v3, v7
	v_add_nc_u32_e32 v8, v0, v8
	s_delay_alu instid0(VALU_DEP_4) | instskip(NEXT) | instid1(VALU_DEP_4)
	v_lshrrev_b32_e32 v5, s26, v5
	v_lshrrev_b32_e32 v6, s19, v6
	s_delay_alu instid0(VALU_DEP_4) | instskip(NEXT) | instid1(VALU_DEP_4)
	v_lshrrev_b32_e32 v7, s16, v7
	v_lshrrev_b32_e32 v8, s13, v8
	s_delay_alu instid0(VALU_DEP_4) | instskip(NEXT) | instid1(VALU_DEP_4)
	v_mul_lo_u32 v5, v5, s27
	v_mul_lo_u32 v6, v6, s24
	s_delay_alu instid0(VALU_DEP_4) | instskip(NEXT) | instid1(VALU_DEP_4)
	v_mul_lo_u32 v7, v7, s17
	v_mul_lo_u32 v8, v8, s14
	s_load_b128 s[16:19], s[0:1], 0xd8
	s_delay_alu instid0(VALU_DEP_4) | instskip(NEXT) | instid1(VALU_DEP_4)
	v_sub_nc_u32_e32 v5, v1, v5
	v_sub_nc_u32_e32 v6, v2, v6
	s_delay_alu instid0(VALU_DEP_4) | instskip(NEXT) | instid1(VALU_DEP_4)
	v_sub_nc_u32_e32 v7, v3, v7
	v_sub_nc_u32_e32 v8, v0, v8
	v_mul_lo_u32 v1, v1, s6
	v_mul_lo_u32 v5, v5, s22
	;; [unrolled: 1-line block ×5, first 2 shown]
	s_clause 0x1
	s_load_b256 s[8:15], s[0:1], 0xb8
	s_load_b64 s[0:1], s[0:1], 0x10
	v_mul_lo_u32 v2, v2, s5
	s_delay_alu instid0(VALU_DEP_3) | instskip(NEXT) | instid1(VALU_DEP_3)
	v_add3_u32 v5, v6, v5, v7
	v_ashrrev_i32_e32 v6, 31, v8
	s_delay_alu instid0(VALU_DEP_2) | instskip(SKIP_1) | instid1(VALU_DEP_2)
	v_ashrrev_i32_e32 v7, 31, v5
	v_add_co_u32 v5, vcc_lo, v8, v5
	v_add_co_ci_u32_e32 v6, vcc_lo, v6, v7, vcc_lo
	s_delay_alu instid0(VALU_DEP_1) | instskip(SKIP_1) | instid1(VALU_DEP_1)
	v_lshlrev_b64 v[5:6], 2, v[5:6]
	s_waitcnt lgkmcnt(0)
	v_add_co_u32 v7, vcc_lo, s8, v5
	s_delay_alu instid0(VALU_DEP_2)
	v_add_co_ci_u32_e32 v8, vcc_lo, s9, v6, vcc_lo
	v_add_co_u32 v9, vcc_lo, s10, v5
	v_add_co_ci_u32_e32 v10, vcc_lo, s11, v6, vcc_lo
	global_load_b32 v11, v[7:8], off
	v_add_co_u32 v7, vcc_lo, s12, v5
	v_add_co_ci_u32_e32 v8, vcc_lo, s13, v6, vcc_lo
	global_load_b32 v12, v[9:10], off
	;; [unrolled: 3-line block ×5, first 2 shown]
	global_load_b32 v5, v[5:6], off
	v_mul_lo_u32 v6, v3, s4
	v_mov_b32_e32 v3, 0
	s_delay_alu instid0(VALU_DEP_2) | instskip(NEXT) | instid1(VALU_DEP_2)
	v_add3_u32 v2, v2, v1, v6
	v_mov_b32_e32 v1, v3
	s_delay_alu instid0(VALU_DEP_2) | instskip(NEXT) | instid1(VALU_DEP_2)
	v_lshlrev_b64 v[2:3], 2, v[2:3]
	v_lshlrev_b64 v[0:1], 2, v[0:1]
	s_delay_alu instid0(VALU_DEP_2) | instskip(NEXT) | instid1(VALU_DEP_3)
	v_add_co_u32 v2, vcc_lo, s0, v2
	v_add_co_ci_u32_e32 v3, vcc_lo, s1, v3, vcc_lo
	s_delay_alu instid0(VALU_DEP_2) | instskip(NEXT) | instid1(VALU_DEP_2)
	v_add_co_u32 v0, vcc_lo, v2, v0
	v_add_co_ci_u32_e32 v1, vcc_lo, v3, v1, vcc_lo
	s_waitcnt vmcnt(5)
	v_mul_f32_e32 v4, v4, v11
	s_waitcnt vmcnt(4)
	s_delay_alu instid0(VALU_DEP_1) | instskip(SKIP_1) | instid1(VALU_DEP_1)
	v_mul_f32_e32 v4, v4, v12
	s_waitcnt vmcnt(3)
	v_mul_f32_e32 v4, v4, v13
	s_waitcnt vmcnt(2)
	s_delay_alu instid0(VALU_DEP_1) | instskip(SKIP_1) | instid1(VALU_DEP_1)
	v_mul_f32_e32 v4, v4, v9
	s_waitcnt vmcnt(1)
	v_mul_f32_e32 v4, v4, v7
	s_waitcnt vmcnt(0)
	s_delay_alu instid0(VALU_DEP_1)
	v_mul_f32_e32 v4, v4, v5
	global_store_b32 v[0:1], v4, off
.LBB128_5:
	s_nop 0
	s_sendmsg sendmsg(MSG_DEALLOC_VGPRS)
	s_endpgm
	.section	.rodata,"a",@progbits
	.p2align	6, 0x0
	.amdhsa_kernel _ZL19k_bin_bcast_unravelIXadL_ZL6op_mulffEEfffJPKfS1_S1_S1_S1_S1_EEvPKT0_PKT1_PT2_15HIP_vector_typeIjLj3EESB_SB_jSB_SB_SB_SB_SB_SB_iiiiiiiiiiiDpT3_
		.amdhsa_group_segment_fixed_size 0
		.amdhsa_private_segment_fixed_size 0
		.amdhsa_kernarg_size 488
		.amdhsa_user_sgpr_count 15
		.amdhsa_user_sgpr_dispatch_ptr 0
		.amdhsa_user_sgpr_queue_ptr 0
		.amdhsa_user_sgpr_kernarg_segment_ptr 1
		.amdhsa_user_sgpr_dispatch_id 0
		.amdhsa_user_sgpr_private_segment_size 0
		.amdhsa_wavefront_size32 1
		.amdhsa_uses_dynamic_stack 0
		.amdhsa_enable_private_segment 0
		.amdhsa_system_sgpr_workgroup_id_x 1
		.amdhsa_system_sgpr_workgroup_id_y 0
		.amdhsa_system_sgpr_workgroup_id_z 0
		.amdhsa_system_sgpr_workgroup_info 0
		.amdhsa_system_vgpr_workitem_id 0
		.amdhsa_next_free_vgpr 14
		.amdhsa_next_free_sgpr 28
		.amdhsa_reserve_vcc 1
		.amdhsa_float_round_mode_32 0
		.amdhsa_float_round_mode_16_64 0
		.amdhsa_float_denorm_mode_32 3
		.amdhsa_float_denorm_mode_16_64 3
		.amdhsa_dx10_clamp 1
		.amdhsa_ieee_mode 1
		.amdhsa_fp16_overflow 0
		.amdhsa_workgroup_processor_mode 1
		.amdhsa_memory_ordered 1
		.amdhsa_forward_progress 0
		.amdhsa_shared_vgpr_count 0
		.amdhsa_exception_fp_ieee_invalid_op 0
		.amdhsa_exception_fp_denorm_src 0
		.amdhsa_exception_fp_ieee_div_zero 0
		.amdhsa_exception_fp_ieee_overflow 0
		.amdhsa_exception_fp_ieee_underflow 0
		.amdhsa_exception_fp_ieee_inexact 0
		.amdhsa_exception_int_div_zero 0
	.end_amdhsa_kernel
	.section	.text._ZL19k_bin_bcast_unravelIXadL_ZL6op_mulffEEfffJPKfS1_S1_S1_S1_S1_EEvPKT0_PKT1_PT2_15HIP_vector_typeIjLj3EESB_SB_jSB_SB_SB_SB_SB_SB_iiiiiiiiiiiDpT3_,"axG",@progbits,_ZL19k_bin_bcast_unravelIXadL_ZL6op_mulffEEfffJPKfS1_S1_S1_S1_S1_EEvPKT0_PKT1_PT2_15HIP_vector_typeIjLj3EESB_SB_jSB_SB_SB_SB_SB_SB_iiiiiiiiiiiDpT3_,comdat
.Lfunc_end128:
	.size	_ZL19k_bin_bcast_unravelIXadL_ZL6op_mulffEEfffJPKfS1_S1_S1_S1_S1_EEvPKT0_PKT1_PT2_15HIP_vector_typeIjLj3EESB_SB_jSB_SB_SB_SB_SB_SB_iiiiiiiiiiiDpT3_, .Lfunc_end128-_ZL19k_bin_bcast_unravelIXadL_ZL6op_mulffEEfffJPKfS1_S1_S1_S1_S1_EEvPKT0_PKT1_PT2_15HIP_vector_typeIjLj3EESB_SB_jSB_SB_SB_SB_SB_SB_iiiiiiiiiiiDpT3_
                                        ; -- End function
	.section	.AMDGPU.csdata,"",@progbits
; Kernel info:
; codeLenInByte = 968
; NumSgprs: 30
; NumVgprs: 14
; ScratchSize: 0
; MemoryBound: 0
; FloatMode: 240
; IeeeMode: 1
; LDSByteSize: 0 bytes/workgroup (compile time only)
; SGPRBlocks: 3
; VGPRBlocks: 1
; NumSGPRsForWavesPerEU: 30
; NumVGPRsForWavesPerEU: 14
; Occupancy: 16
; WaveLimiterHint : 1
; COMPUTE_PGM_RSRC2:SCRATCH_EN: 0
; COMPUTE_PGM_RSRC2:USER_SGPR: 15
; COMPUTE_PGM_RSRC2:TRAP_HANDLER: 0
; COMPUTE_PGM_RSRC2:TGID_X_EN: 1
; COMPUTE_PGM_RSRC2:TGID_Y_EN: 0
; COMPUTE_PGM_RSRC2:TGID_Z_EN: 0
; COMPUTE_PGM_RSRC2:TIDIG_COMP_CNT: 0
	.section	.text._ZL11k_bin_bcastIXadL_ZL6op_mulffEEfffJPKfS1_S1_S1_S1_S1_EEvPKT0_PKT1_PT2_iii15HIP_vector_typeIjLj3EESB_SB_SB_SB_iiiiiiiiiiiDpT3_,"axG",@progbits,_ZL11k_bin_bcastIXadL_ZL6op_mulffEEfffJPKfS1_S1_S1_S1_S1_EEvPKT0_PKT1_PT2_iii15HIP_vector_typeIjLj3EESB_SB_SB_SB_iiiiiiiiiiiDpT3_,comdat
	.globl	_ZL11k_bin_bcastIXadL_ZL6op_mulffEEfffJPKfS1_S1_S1_S1_S1_EEvPKT0_PKT1_PT2_iii15HIP_vector_typeIjLj3EESB_SB_SB_SB_iiiiiiiiiiiDpT3_ ; -- Begin function _ZL11k_bin_bcastIXadL_ZL6op_mulffEEfffJPKfS1_S1_S1_S1_S1_EEvPKT0_PKT1_PT2_iii15HIP_vector_typeIjLj3EESB_SB_SB_SB_iiiiiiiiiiiDpT3_
	.p2align	8
	.type	_ZL11k_bin_bcastIXadL_ZL6op_mulffEEfffJPKfS1_S1_S1_S1_S1_EEvPKT0_PKT1_PT2_iii15HIP_vector_typeIjLj3EESB_SB_SB_SB_iiiiiiiiiiiDpT3_,@function
_ZL11k_bin_bcastIXadL_ZL6op_mulffEEfffJPKfS1_S1_S1_S1_S1_EEvPKT0_PKT1_PT2_iii15HIP_vector_typeIjLj3EESB_SB_SB_SB_iiiiiiiiiiiDpT3_: ; @_ZL11k_bin_bcastIXadL_ZL6op_mulffEEfffJPKfS1_S1_S1_S1_S1_EEvPKT0_PKT1_PT2_iii15HIP_vector_typeIjLj3EESB_SB_SB_SB_iiiiiiiiiiiDpT3_
; %bb.0:
	s_clause 0x1
	s_load_b64 s[2:3], s[0:1], 0xcc
	s_load_b256 s[16:23], s[0:1], 0x18
	v_bfe_u32 v1, v0, 20, 10
	s_add_u32 s34, s0, 0xc0
	s_addc_u32 s35, s1, 0
	s_waitcnt lgkmcnt(0)
	s_and_b32 s3, s3, 0xffff
	s_delay_alu instid0(SALU_CYCLE_1) | instskip(SKIP_3) | instid1(VALU_DEP_3)
	v_mad_u64_u32 v[4:5], null, s15, s3, v[1:2]
	v_and_b32_e32 v2, 0x3ff, v0
	v_bfe_u32 v5, v0, 10, 10
	s_lshr_b32 s3, s2, 16
	v_mul_hi_u32 v1, v4, s19
	s_delay_alu instid0(VALU_DEP_1) | instskip(NEXT) | instid1(VALU_DEP_1)
	v_add_nc_u32_e32 v1, v4, v1
	v_lshrrev_b32_e32 v3, s20, v1
	s_and_b32 s20, s2, 0xffff
	s_delay_alu instid0(VALU_DEP_1) | instskip(SKIP_1) | instid1(VALU_DEP_2)
	v_mul_lo_u32 v6, v3, s21
	v_mad_u64_u32 v[0:1], null, s13, s20, v[2:3]
	v_mad_u64_u32 v[1:2], null, s14, s3, v[5:6]
	v_sub_nc_u32_e32 v4, v4, v6
	s_delay_alu instid0(VALU_DEP_3) | instskip(SKIP_1) | instid1(VALU_DEP_3)
	v_cmp_gt_u32_e32 vcc_lo, s16, v0
	v_cmp_gt_u32_e64 s3, s18, v3
	v_cmp_gt_u32_e64 s4, s21, v4
	;; [unrolled: 1-line block ×3, first 2 shown]
	s_delay_alu instid0(VALU_DEP_1)
	s_and_b32 s2, vcc_lo, s2
	s_delay_alu instid0(VALU_DEP_3) | instid1(SALU_CYCLE_1)
	s_and_b32 s2, s2, s3
	s_delay_alu instid0(VALU_DEP_2) | instid1(SALU_CYCLE_1)
	s_and_b32 s2, s2, s4
	s_delay_alu instid0(SALU_CYCLE_1)
	s_and_saveexec_b32 s3, s2
	s_cbranch_execz .LBB129_6
; %bb.1:
	v_cmp_gt_i32_e32 vcc_lo, s16, v0
	s_and_b32 exec_lo, exec_lo, vcc_lo
	s_cbranch_execz .LBB129_6
; %bb.2:
	s_clause 0x2
	s_load_b256 s[24:31], s[0:1], 0x3c
	s_load_b256 s[4:11], s[0:1], 0x60
	s_load_b128 s[36:39], s[0:1], 0x80
	s_load_b32 s17, s[34:35], 0x0
	s_clause 0x4
	s_load_b32 s21, s[0:1], 0x5c
	s_load_b64 s[18:19], s[0:1], 0x0
	s_load_b32 s33, s[0:1], 0x38
	s_load_b64 s[2:3], s[0:1], 0x10
	s_load_b128 s[12:15], s[0:1], 0xb0
	s_waitcnt lgkmcnt(0)
	v_mul_hi_u32 v2, s24, v1
	v_mul_hi_u32 v5, s27, v3
	;; [unrolled: 1-line block ×3, first 2 shown]
	v_mul_lo_u32 v9, v4, s10
	v_mul_lo_u32 v10, v3, s9
	;; [unrolled: 1-line block ×3, first 2 shown]
	v_mov_b32_e32 v6, 0
	v_mul_lo_u32 v12, v4, s6
	v_add_nc_u32_e32 v2, v1, v2
	v_add_nc_u32_e32 v5, v3, v5
	s_delay_alu instid0(VALU_DEP_4) | instskip(SKIP_1) | instid1(VALU_DEP_4)
	v_dual_mov_b32 v8, v6 :: v_dual_add_nc_u32 v7, v4, v7
	v_mul_lo_u32 v13, v3, s5
	v_lshrrev_b32_e32 v2, s25, v2
	s_delay_alu instid0(VALU_DEP_4) | instskip(NEXT) | instid1(VALU_DEP_4)
	v_lshrrev_b32_e32 v15, s28, v5
	v_lshrrev_b32_e32 v16, s31, v7
	v_add3_u32 v5, v10, v11, v9
	v_mul_lo_u32 v14, v1, s4
	v_mul_lo_u32 v9, v2, s26
	;; [unrolled: 1-line block ×4, first 2 shown]
	v_lshlrev_b64 v[5:6], 2, v[5:6]
	s_load_b256 s[24:31], s[0:1], 0x90
	s_cmp_lg_u64 s[18:19], 0
	v_mul_lo_u32 v2, s7, v0
	v_add3_u32 v7, v13, v14, v12
	v_sub_nc_u32_e32 v1, v1, v9
	v_sub_nc_u32_e32 v3, v3, v10
	;; [unrolled: 1-line block ×3, first 2 shown]
	v_add_co_u32 v9, vcc_lo, s18, v5
	v_add_co_ci_u32_e32 v5, vcc_lo, s19, v6, vcc_lo
	v_lshlrev_b64 v[7:8], 2, v[7:8]
	s_delay_alu instid0(VALU_DEP_4)
	v_mul_lo_u32 v10, v4, s38
	v_mul_lo_u32 v3, v3, s37
	;; [unrolled: 1-line block ×3, first 2 shown]
	s_cselect_b32 vcc_lo, -1, 0
	s_sub_i32 s5, 0, s33
	v_cndmask_b32_e32 v5, 0, v5, vcc_lo
	v_cndmask_b32_e32 v4, 0, v9, vcc_lo
	v_add_co_u32 v6, vcc_lo, s2, v7
	v_add_co_ci_u32_e32 v7, vcc_lo, s3, v8, vcc_lo
	s_delay_alu instid0(VALU_DEP_3)
	v_cmp_ne_u64_e32 vcc_lo, 0, v[4:5]
	v_add3_u32 v8, v3, v10, v1
	s_mul_i32 s2, s17, s20
	s_mov_b32 s3, 0
	s_mul_i32 s4, s2, s7
	s_branch .LBB129_4
.LBB129_3:                              ;   in Loop: Header=BB129_4 Depth=1
	s_or_b32 exec_lo, exec_lo, s1
	v_mul_hi_u32 v3, s22, v0
	v_add_nc_u32_e32 v2, s4, v2
	s_delay_alu instid0(VALU_DEP_2) | instskip(NEXT) | instid1(VALU_DEP_1)
	v_add_nc_u32_e32 v3, v0, v3
	v_lshrrev_b32_e32 v3, s23, v3
	s_waitcnt vmcnt(0)
	s_delay_alu instid0(VALU_DEP_1) | instskip(NEXT) | instid1(VALU_DEP_1)
	v_mad_u64_u32 v[9:10], null, s5, v3, v[0:1]
	v_mul_lo_u32 v3, v9, s11
	s_delay_alu instid0(VALU_DEP_1) | instskip(NEXT) | instid1(VALU_DEP_1)
	v_add_co_u32 v9, s0, v3, v8
	v_add_co_ci_u32_e64 v10, null, 0, 0, s0
	s_delay_alu instid0(VALU_DEP_1) | instskip(SKIP_1) | instid1(VALU_DEP_1)
	v_lshlrev_b64 v[9:10], 2, v[9:10]
	s_waitcnt lgkmcnt(0)
	v_add_co_u32 v11, s0, s24, v9
	s_delay_alu instid0(VALU_DEP_1) | instskip(SKIP_1) | instid1(VALU_DEP_1)
	v_add_co_ci_u32_e64 v12, s0, s25, v10, s0
	v_add_co_u32 v13, s0, s26, v9
	v_add_co_ci_u32_e64 v14, s0, s27, v10, s0
	global_load_b32 v3, v[11:12], off
	v_add_co_u32 v11, s0, s28, v9
	s_delay_alu instid0(VALU_DEP_1) | instskip(SKIP_2) | instid1(VALU_DEP_1)
	v_add_co_ci_u32_e64 v12, s0, s29, v10, s0
	global_load_b32 v15, v[13:14], off
	v_add_co_u32 v13, s0, s30, v9
	v_add_co_ci_u32_e64 v14, s0, s31, v10, s0
	global_load_b32 v16, v[11:12], off
	v_add_co_u32 v11, s0, s12, v9
	s_delay_alu instid0(VALU_DEP_1) | instskip(SKIP_2) | instid1(VALU_DEP_1)
	v_add_co_ci_u32_e64 v12, s0, s13, v10, s0
	global_load_b32 v13, v[13:14], off
	v_add_co_u32 v9, s0, s14, v9
	v_add_co_ci_u32_e64 v10, s0, s15, v10, s0
	global_load_b32 v11, v[11:12], off
	global_load_b32 v12, v[9:10], off
	s_waitcnt vmcnt(5)
	v_mul_f32_e32 v1, v1, v3
	s_waitcnt vmcnt(4)
	s_delay_alu instid0(VALU_DEP_1) | instskip(SKIP_1) | instid1(VALU_DEP_1)
	v_mul_f32_e32 v1, v1, v15
	s_waitcnt vmcnt(3)
	v_mul_f32_e32 v3, v1, v16
	v_ashrrev_i32_e32 v1, 31, v0
	s_waitcnt vmcnt(2)
	s_delay_alu instid0(VALU_DEP_2) | instskip(NEXT) | instid1(VALU_DEP_2)
	v_mul_f32_e32 v3, v3, v13
	v_lshlrev_b64 v[9:10], 2, v[0:1]
	s_waitcnt vmcnt(1)
	s_delay_alu instid0(VALU_DEP_2) | instskip(NEXT) | instid1(VALU_DEP_1)
	v_dual_mul_f32 v1, v3, v11 :: v_dual_add_nc_u32 v0, s2, v0
	v_cmp_le_i32_e64 s0, s16, v0
	s_delay_alu instid0(VALU_DEP_3) | instskip(NEXT) | instid1(VALU_DEP_1)
	v_add_co_u32 v9, s1, v6, v9
	v_add_co_ci_u32_e64 v10, s1, v7, v10, s1
	s_waitcnt vmcnt(0)
	v_mul_f32_e32 v1, v1, v12
	s_or_b32 s3, s0, s3
	global_store_b32 v[9:10], v1, off
	s_and_not1_b32 exec_lo, exec_lo, s3
	s_cbranch_execz .LBB129_6
.LBB129_4:                              ; =>This Inner Loop Header: Depth=1
	v_mov_b32_e32 v1, 0
	s_and_saveexec_b32 s1, vcc_lo
	s_cbranch_execz .LBB129_3
; %bb.5:                                ;   in Loop: Header=BB129_4 Depth=1
	v_ashrrev_i32_e32 v3, 31, v2
	s_delay_alu instid0(VALU_DEP_1) | instskip(NEXT) | instid1(VALU_DEP_1)
	v_lshlrev_b64 v[9:10], 2, v[2:3]
	v_add_co_u32 v9, s0, v4, v9
	s_delay_alu instid0(VALU_DEP_1)
	v_add_co_ci_u32_e64 v10, s0, v5, v10, s0
	global_load_b32 v1, v[9:10], off
	s_branch .LBB129_3
.LBB129_6:
	s_nop 0
	s_sendmsg sendmsg(MSG_DEALLOC_VGPRS)
	s_endpgm
	.section	.rodata,"a",@progbits
	.p2align	6, 0x0
	.amdhsa_kernel _ZL11k_bin_bcastIXadL_ZL6op_mulffEEfffJPKfS1_S1_S1_S1_S1_EEvPKT0_PKT1_PT2_iii15HIP_vector_typeIjLj3EESB_SB_SB_SB_iiiiiiiiiiiDpT3_
		.amdhsa_group_segment_fixed_size 0
		.amdhsa_private_segment_fixed_size 0
		.amdhsa_kernarg_size 448
		.amdhsa_user_sgpr_count 13
		.amdhsa_user_sgpr_dispatch_ptr 0
		.amdhsa_user_sgpr_queue_ptr 0
		.amdhsa_user_sgpr_kernarg_segment_ptr 1
		.amdhsa_user_sgpr_dispatch_id 0
		.amdhsa_user_sgpr_private_segment_size 0
		.amdhsa_wavefront_size32 1
		.amdhsa_uses_dynamic_stack 0
		.amdhsa_enable_private_segment 0
		.amdhsa_system_sgpr_workgroup_id_x 1
		.amdhsa_system_sgpr_workgroup_id_y 1
		.amdhsa_system_sgpr_workgroup_id_z 1
		.amdhsa_system_sgpr_workgroup_info 0
		.amdhsa_system_vgpr_workitem_id 2
		.amdhsa_next_free_vgpr 17
		.amdhsa_next_free_sgpr 40
		.amdhsa_reserve_vcc 1
		.amdhsa_float_round_mode_32 0
		.amdhsa_float_round_mode_16_64 0
		.amdhsa_float_denorm_mode_32 3
		.amdhsa_float_denorm_mode_16_64 3
		.amdhsa_dx10_clamp 1
		.amdhsa_ieee_mode 1
		.amdhsa_fp16_overflow 0
		.amdhsa_workgroup_processor_mode 1
		.amdhsa_memory_ordered 1
		.amdhsa_forward_progress 0
		.amdhsa_shared_vgpr_count 0
		.amdhsa_exception_fp_ieee_invalid_op 0
		.amdhsa_exception_fp_denorm_src 0
		.amdhsa_exception_fp_ieee_div_zero 0
		.amdhsa_exception_fp_ieee_overflow 0
		.amdhsa_exception_fp_ieee_underflow 0
		.amdhsa_exception_fp_ieee_inexact 0
		.amdhsa_exception_int_div_zero 0
	.end_amdhsa_kernel
	.section	.text._ZL11k_bin_bcastIXadL_ZL6op_mulffEEfffJPKfS1_S1_S1_S1_S1_EEvPKT0_PKT1_PT2_iii15HIP_vector_typeIjLj3EESB_SB_SB_SB_iiiiiiiiiiiDpT3_,"axG",@progbits,_ZL11k_bin_bcastIXadL_ZL6op_mulffEEfffJPKfS1_S1_S1_S1_S1_EEvPKT0_PKT1_PT2_iii15HIP_vector_typeIjLj3EESB_SB_SB_SB_iiiiiiiiiiiDpT3_,comdat
.Lfunc_end129:
	.size	_ZL11k_bin_bcastIXadL_ZL6op_mulffEEfffJPKfS1_S1_S1_S1_S1_EEvPKT0_PKT1_PT2_iii15HIP_vector_typeIjLj3EESB_SB_SB_SB_iiiiiiiiiiiDpT3_, .Lfunc_end129-_ZL11k_bin_bcastIXadL_ZL6op_mulffEEfffJPKfS1_S1_S1_S1_S1_EEvPKT0_PKT1_PT2_iii15HIP_vector_typeIjLj3EESB_SB_SB_SB_iiiiiiiiiiiDpT3_
                                        ; -- End function
	.section	.AMDGPU.csdata,"",@progbits
; Kernel info:
; codeLenInByte = 1048
; NumSgprs: 42
; NumVgprs: 17
; ScratchSize: 0
; MemoryBound: 0
; FloatMode: 240
; IeeeMode: 1
; LDSByteSize: 0 bytes/workgroup (compile time only)
; SGPRBlocks: 5
; VGPRBlocks: 2
; NumSGPRsForWavesPerEU: 42
; NumVGPRsForWavesPerEU: 17
; Occupancy: 16
; WaveLimiterHint : 1
; COMPUTE_PGM_RSRC2:SCRATCH_EN: 0
; COMPUTE_PGM_RSRC2:USER_SGPR: 13
; COMPUTE_PGM_RSRC2:TRAP_HANDLER: 0
; COMPUTE_PGM_RSRC2:TGID_X_EN: 1
; COMPUTE_PGM_RSRC2:TGID_Y_EN: 1
; COMPUTE_PGM_RSRC2:TGID_Z_EN: 1
; COMPUTE_PGM_RSRC2:TIDIG_COMP_CNT: 2
	.section	.text._ZL19k_bin_bcast_unravelIXadL_ZL6op_mulffEE6__halfS0_S0_JPKS0_S2_S2_S2_S2_S2_EEvPKT0_PKT1_PT2_15HIP_vector_typeIjLj3EESC_SC_jSC_SC_SC_SC_SC_SC_iiiiiiiiiiiDpT3_,"axG",@progbits,_ZL19k_bin_bcast_unravelIXadL_ZL6op_mulffEE6__halfS0_S0_JPKS0_S2_S2_S2_S2_S2_EEvPKT0_PKT1_PT2_15HIP_vector_typeIjLj3EESC_SC_jSC_SC_SC_SC_SC_SC_iiiiiiiiiiiDpT3_,comdat
	.globl	_ZL19k_bin_bcast_unravelIXadL_ZL6op_mulffEE6__halfS0_S0_JPKS0_S2_S2_S2_S2_S2_EEvPKT0_PKT1_PT2_15HIP_vector_typeIjLj3EESC_SC_jSC_SC_SC_SC_SC_SC_iiiiiiiiiiiDpT3_ ; -- Begin function _ZL19k_bin_bcast_unravelIXadL_ZL6op_mulffEE6__halfS0_S0_JPKS0_S2_S2_S2_S2_S2_EEvPKT0_PKT1_PT2_15HIP_vector_typeIjLj3EESC_SC_jSC_SC_SC_SC_SC_SC_iiiiiiiiiiiDpT3_
	.p2align	8
	.type	_ZL19k_bin_bcast_unravelIXadL_ZL6op_mulffEE6__halfS0_S0_JPKS0_S2_S2_S2_S2_S2_EEvPKT0_PKT1_PT2_15HIP_vector_typeIjLj3EESC_SC_jSC_SC_SC_SC_SC_SC_iiiiiiiiiiiDpT3_,@function
_ZL19k_bin_bcast_unravelIXadL_ZL6op_mulffEE6__halfS0_S0_JPKS0_S2_S2_S2_S2_S2_EEvPKT0_PKT1_PT2_15HIP_vector_typeIjLj3EESC_SC_jSC_SC_SC_SC_SC_SC_iiiiiiiiiiiDpT3_: ; @_ZL19k_bin_bcast_unravelIXadL_ZL6op_mulffEE6__halfS0_S0_JPKS0_S2_S2_S2_S2_S2_EEvPKT0_PKT1_PT2_15HIP_vector_typeIjLj3EESC_SC_jSC_SC_SC_SC_SC_SC_iiiiiiiiiiiDpT3_
; %bb.0:
	s_clause 0x1
	s_load_b32 s2, s[0:1], 0xf4
	s_load_b256 s[4:11], s[0:1], 0x38
	s_waitcnt lgkmcnt(0)
	s_and_b32 s2, s2, 0xffff
	s_delay_alu instid0(SALU_CYCLE_1) | instskip(SKIP_3) | instid1(VALU_DEP_1)
	v_mad_u64_u32 v[2:3], null, s15, s2, v[0:1]
	s_clause 0x1
	s_load_b128 s[12:15], s[0:1], 0x18
	s_load_b32 s2, s[0:1], 0x2c
	v_mul_hi_u32 v0, v2, s6
	s_delay_alu instid0(VALU_DEP_1) | instskip(NEXT) | instid1(VALU_DEP_1)
	v_add_nc_u32_e32 v0, v2, v0
	v_lshrrev_b32_e32 v1, s7, v0
	s_delay_alu instid0(VALU_DEP_1) | instskip(NEXT) | instid1(VALU_DEP_1)
	v_mul_lo_u32 v0, v1, s8
	v_sub_nc_u32_e32 v0, v2, v0
	s_delay_alu instid0(VALU_DEP_1) | instskip(NEXT) | instid1(VALU_DEP_1)
	v_mul_hi_u32 v2, v0, s9
	v_add_nc_u32_e32 v2, v0, v2
	s_delay_alu instid0(VALU_DEP_1) | instskip(NEXT) | instid1(VALU_DEP_1)
	v_lshrrev_b32_e32 v2, s10, v2
	v_mul_lo_u32 v3, v2, s11
	v_cmp_gt_u32_e64 s3, s4, v2
	v_cmp_gt_u32_e64 s4, s5, v1
	s_delay_alu instid0(VALU_DEP_3) | instskip(SKIP_1) | instid1(VALU_DEP_1)
	v_sub_nc_u32_e32 v0, v0, v3
	s_waitcnt lgkmcnt(0)
	v_mul_hi_u32 v3, v0, s12
	s_delay_alu instid0(VALU_DEP_1) | instskip(NEXT) | instid1(VALU_DEP_1)
	v_add_nc_u32_e32 v3, v0, v3
	v_lshrrev_b32_e32 v3, s13, v3
	s_delay_alu instid0(VALU_DEP_1) | instskip(SKIP_1) | instid1(VALU_DEP_2)
	v_mul_lo_u32 v4, v3, s14
	v_cmp_gt_u32_e64 s2, s2, v3
	v_sub_nc_u32_e32 v0, v0, v4
	s_delay_alu instid0(VALU_DEP_1) | instskip(NEXT) | instid1(VALU_DEP_3)
	v_cmp_gt_u32_e32 vcc_lo, s14, v0
	s_and_b32 s2, vcc_lo, s2
	s_delay_alu instid0(SALU_CYCLE_1) | instskip(NEXT) | instid1(SALU_CYCLE_1)
	s_and_b32 s2, s2, s3
	s_and_b32 s2, s4, s2
	s_delay_alu instid0(SALU_CYCLE_1)
	s_and_saveexec_b32 s3, s2
	s_cbranch_execz .LBB130_5
; %bb.1:
	s_clause 0x4
	s_load_b64 s[2:3], s[0:1], 0x0
	s_load_b128 s[20:23], s[0:1], 0xa8
	s_load_b256 s[4:11], s[0:1], 0x88
	s_load_b128 s[24:27], s[0:1], 0x78
	s_load_b256 s[12:19], s[0:1], 0x58
	s_waitcnt lgkmcnt(0)
	s_cmp_eq_u64 s[2:3], 0
	s_cbranch_scc1 .LBB130_3
; %bb.2:
	v_mul_lo_u32 v4, v1, s10
	v_mul_lo_u32 v6, v2, s9
	;; [unrolled: 1-line block ×3, first 2 shown]
	v_mov_b32_e32 v5, 0
	s_delay_alu instid0(VALU_DEP_2) | instskip(NEXT) | instid1(VALU_DEP_1)
	v_add3_u32 v4, v6, v4, v7
	v_lshlrev_b64 v[6:7], 1, v[4:5]
	v_mul_lo_u32 v4, v0, s7
	s_delay_alu instid0(VALU_DEP_2) | instskip(NEXT) | instid1(VALU_DEP_3)
	v_add_co_u32 v6, vcc_lo, s2, v6
	v_add_co_ci_u32_e32 v7, vcc_lo, s3, v7, vcc_lo
	s_delay_alu instid0(VALU_DEP_3) | instskip(NEXT) | instid1(VALU_DEP_1)
	v_lshlrev_b64 v[4:5], 1, v[4:5]
	v_add_co_u32 v4, vcc_lo, v6, v4
	s_delay_alu instid0(VALU_DEP_2)
	v_add_co_ci_u32_e32 v5, vcc_lo, v7, v5, vcc_lo
	global_load_u16 v4, v[4:5], off
	s_waitcnt vmcnt(0)
	v_cvt_f32_f16_e32 v4, v4
	s_branch .LBB130_4
.LBB130_3:
	v_mov_b32_e32 v4, 0
.LBB130_4:
	v_mul_hi_u32 v5, s25, v1
	v_mul_hi_u32 v6, s18, v2
	;; [unrolled: 1-line block ×4, first 2 shown]
	s_delay_alu instid0(VALU_DEP_4) | instskip(NEXT) | instid1(VALU_DEP_4)
	v_add_nc_u32_e32 v5, v1, v5
	v_add_nc_u32_e32 v6, v2, v6
	s_delay_alu instid0(VALU_DEP_4) | instskip(NEXT) | instid1(VALU_DEP_4)
	v_add_nc_u32_e32 v7, v3, v7
	v_add_nc_u32_e32 v8, v0, v8
	s_delay_alu instid0(VALU_DEP_4) | instskip(NEXT) | instid1(VALU_DEP_4)
	v_lshrrev_b32_e32 v5, s26, v5
	v_lshrrev_b32_e32 v6, s19, v6
	s_delay_alu instid0(VALU_DEP_4) | instskip(NEXT) | instid1(VALU_DEP_4)
	v_lshrrev_b32_e32 v7, s16, v7
	v_lshrrev_b32_e32 v8, s13, v8
	s_delay_alu instid0(VALU_DEP_4) | instskip(NEXT) | instid1(VALU_DEP_4)
	v_mul_lo_u32 v5, v5, s27
	v_mul_lo_u32 v6, v6, s24
	s_delay_alu instid0(VALU_DEP_4) | instskip(NEXT) | instid1(VALU_DEP_4)
	v_mul_lo_u32 v7, v7, s17
	v_mul_lo_u32 v8, v8, s14
	s_load_b128 s[16:19], s[0:1], 0xd8
	s_delay_alu instid0(VALU_DEP_4) | instskip(NEXT) | instid1(VALU_DEP_4)
	v_sub_nc_u32_e32 v5, v1, v5
	v_sub_nc_u32_e32 v6, v2, v6
	s_delay_alu instid0(VALU_DEP_4) | instskip(NEXT) | instid1(VALU_DEP_4)
	v_sub_nc_u32_e32 v7, v3, v7
	v_sub_nc_u32_e32 v8, v0, v8
	v_mul_lo_u32 v1, v1, s6
	v_mul_lo_u32 v5, v5, s22
	v_mul_lo_u32 v6, v6, s21
	v_mul_lo_u32 v7, v7, s20
	v_mul_lo_u32 v8, v8, s11
	s_clause 0x1
	s_load_b256 s[8:15], s[0:1], 0xb8
	s_load_b64 s[0:1], s[0:1], 0x10
	v_mul_lo_u32 v2, v2, s5
	s_delay_alu instid0(VALU_DEP_3) | instskip(NEXT) | instid1(VALU_DEP_3)
	v_add3_u32 v5, v6, v5, v7
	v_ashrrev_i32_e32 v6, 31, v8
	s_delay_alu instid0(VALU_DEP_2) | instskip(SKIP_1) | instid1(VALU_DEP_2)
	v_ashrrev_i32_e32 v7, 31, v5
	v_add_co_u32 v5, vcc_lo, v8, v5
	v_add_co_ci_u32_e32 v6, vcc_lo, v6, v7, vcc_lo
	s_delay_alu instid0(VALU_DEP_1) | instskip(SKIP_1) | instid1(VALU_DEP_1)
	v_lshlrev_b64 v[5:6], 1, v[5:6]
	s_waitcnt lgkmcnt(0)
	v_add_co_u32 v7, vcc_lo, s8, v5
	s_delay_alu instid0(VALU_DEP_2)
	v_add_co_ci_u32_e32 v8, vcc_lo, s9, v6, vcc_lo
	v_add_co_u32 v9, vcc_lo, s10, v5
	v_add_co_ci_u32_e32 v10, vcc_lo, s11, v6, vcc_lo
	global_load_u16 v11, v[7:8], off
	v_add_co_u32 v7, vcc_lo, s12, v5
	v_add_co_ci_u32_e32 v8, vcc_lo, s13, v6, vcc_lo
	global_load_u16 v12, v[9:10], off
	;; [unrolled: 3-line block ×4, first 2 shown]
	global_load_u16 v7, v[7:8], off
	v_add_co_u32 v5, vcc_lo, s18, v5
	v_add_co_ci_u32_e32 v6, vcc_lo, s19, v6, vcc_lo
	global_load_u16 v5, v[5:6], off
	s_waitcnt vmcnt(5)
	v_cvt_f32_f16_e32 v6, v11
	s_waitcnt vmcnt(4)
	v_cvt_f32_f16_e32 v8, v12
	s_delay_alu instid0(VALU_DEP_2)
	v_mul_f32_e32 v4, v4, v6
	v_mul_lo_u32 v6, v3, s4
	v_mov_b32_e32 v3, 0
	s_waitcnt vmcnt(3)
	v_cvt_f32_f16_e32 v10, v13
	v_mul_f32_e32 v4, v4, v8
	s_delay_alu instid0(VALU_DEP_4)
	v_add3_u32 v2, v2, v1, v6
	v_mov_b32_e32 v1, v3
	s_waitcnt vmcnt(2)
	v_cvt_f32_f16_e32 v8, v9
	v_mul_f32_e32 v4, v4, v10
	s_waitcnt vmcnt(1)
	v_cvt_f32_f16_e32 v6, v7
	v_lshlrev_b64 v[2:3], 1, v[2:3]
	v_lshlrev_b64 v[0:1], 1, v[0:1]
	v_mul_f32_e32 v4, v4, v8
	s_delay_alu instid0(VALU_DEP_3) | instskip(NEXT) | instid1(VALU_DEP_2)
	v_add_co_u32 v2, vcc_lo, s0, v2
	v_mul_f32_e32 v4, v4, v6
	v_add_co_ci_u32_e32 v3, vcc_lo, s1, v3, vcc_lo
	s_delay_alu instid0(VALU_DEP_3) | instskip(SKIP_1) | instid1(VALU_DEP_3)
	v_add_co_u32 v0, vcc_lo, v2, v0
	s_waitcnt vmcnt(0)
	v_fma_mixlo_f16 v4, v4, v5, 0 op_sel_hi:[0,1,0]
	s_delay_alu instid0(VALU_DEP_3)
	v_add_co_ci_u32_e32 v1, vcc_lo, v3, v1, vcc_lo
	global_store_b16 v[0:1], v4, off
.LBB130_5:
	s_nop 0
	s_sendmsg sendmsg(MSG_DEALLOC_VGPRS)
	s_endpgm
	.section	.rodata,"a",@progbits
	.p2align	6, 0x0
	.amdhsa_kernel _ZL19k_bin_bcast_unravelIXadL_ZL6op_mulffEE6__halfS0_S0_JPKS0_S2_S2_S2_S2_S2_EEvPKT0_PKT1_PT2_15HIP_vector_typeIjLj3EESC_SC_jSC_SC_SC_SC_SC_SC_iiiiiiiiiiiDpT3_
		.amdhsa_group_segment_fixed_size 0
		.amdhsa_private_segment_fixed_size 0
		.amdhsa_kernarg_size 488
		.amdhsa_user_sgpr_count 15
		.amdhsa_user_sgpr_dispatch_ptr 0
		.amdhsa_user_sgpr_queue_ptr 0
		.amdhsa_user_sgpr_kernarg_segment_ptr 1
		.amdhsa_user_sgpr_dispatch_id 0
		.amdhsa_user_sgpr_private_segment_size 0
		.amdhsa_wavefront_size32 1
		.amdhsa_uses_dynamic_stack 0
		.amdhsa_enable_private_segment 0
		.amdhsa_system_sgpr_workgroup_id_x 1
		.amdhsa_system_sgpr_workgroup_id_y 0
		.amdhsa_system_sgpr_workgroup_id_z 0
		.amdhsa_system_sgpr_workgroup_info 0
		.amdhsa_system_vgpr_workitem_id 0
		.amdhsa_next_free_vgpr 14
		.amdhsa_next_free_sgpr 28
		.amdhsa_reserve_vcc 1
		.amdhsa_float_round_mode_32 0
		.amdhsa_float_round_mode_16_64 0
		.amdhsa_float_denorm_mode_32 3
		.amdhsa_float_denorm_mode_16_64 3
		.amdhsa_dx10_clamp 1
		.amdhsa_ieee_mode 1
		.amdhsa_fp16_overflow 0
		.amdhsa_workgroup_processor_mode 1
		.amdhsa_memory_ordered 1
		.amdhsa_forward_progress 0
		.amdhsa_shared_vgpr_count 0
		.amdhsa_exception_fp_ieee_invalid_op 0
		.amdhsa_exception_fp_denorm_src 0
		.amdhsa_exception_fp_ieee_div_zero 0
		.amdhsa_exception_fp_ieee_overflow 0
		.amdhsa_exception_fp_ieee_underflow 0
		.amdhsa_exception_fp_ieee_inexact 0
		.amdhsa_exception_int_div_zero 0
	.end_amdhsa_kernel
	.section	.text._ZL19k_bin_bcast_unravelIXadL_ZL6op_mulffEE6__halfS0_S0_JPKS0_S2_S2_S2_S2_S2_EEvPKT0_PKT1_PT2_15HIP_vector_typeIjLj3EESC_SC_jSC_SC_SC_SC_SC_SC_iiiiiiiiiiiDpT3_,"axG",@progbits,_ZL19k_bin_bcast_unravelIXadL_ZL6op_mulffEE6__halfS0_S0_JPKS0_S2_S2_S2_S2_S2_EEvPKT0_PKT1_PT2_15HIP_vector_typeIjLj3EESC_SC_jSC_SC_SC_SC_SC_SC_iiiiiiiiiiiDpT3_,comdat
.Lfunc_end130:
	.size	_ZL19k_bin_bcast_unravelIXadL_ZL6op_mulffEE6__halfS0_S0_JPKS0_S2_S2_S2_S2_S2_EEvPKT0_PKT1_PT2_15HIP_vector_typeIjLj3EESC_SC_jSC_SC_SC_SC_SC_SC_iiiiiiiiiiiDpT3_, .Lfunc_end130-_ZL19k_bin_bcast_unravelIXadL_ZL6op_mulffEE6__halfS0_S0_JPKS0_S2_S2_S2_S2_S2_EEvPKT0_PKT1_PT2_15HIP_vector_typeIjLj3EESC_SC_jSC_SC_SC_SC_SC_SC_iiiiiiiiiiiDpT3_
                                        ; -- End function
	.section	.AMDGPU.csdata,"",@progbits
; Kernel info:
; codeLenInByte = 992
; NumSgprs: 30
; NumVgprs: 14
; ScratchSize: 0
; MemoryBound: 0
; FloatMode: 240
; IeeeMode: 1
; LDSByteSize: 0 bytes/workgroup (compile time only)
; SGPRBlocks: 3
; VGPRBlocks: 1
; NumSGPRsForWavesPerEU: 30
; NumVGPRsForWavesPerEU: 14
; Occupancy: 16
; WaveLimiterHint : 1
; COMPUTE_PGM_RSRC2:SCRATCH_EN: 0
; COMPUTE_PGM_RSRC2:USER_SGPR: 15
; COMPUTE_PGM_RSRC2:TRAP_HANDLER: 0
; COMPUTE_PGM_RSRC2:TGID_X_EN: 1
; COMPUTE_PGM_RSRC2:TGID_Y_EN: 0
; COMPUTE_PGM_RSRC2:TGID_Z_EN: 0
; COMPUTE_PGM_RSRC2:TIDIG_COMP_CNT: 0
	.section	.text._ZL11k_bin_bcastIXadL_ZL6op_mulffEE6__halfS0_S0_JPKS0_S2_S2_S2_S2_S2_EEvPKT0_PKT1_PT2_iii15HIP_vector_typeIjLj3EESC_SC_SC_SC_iiiiiiiiiiiDpT3_,"axG",@progbits,_ZL11k_bin_bcastIXadL_ZL6op_mulffEE6__halfS0_S0_JPKS0_S2_S2_S2_S2_S2_EEvPKT0_PKT1_PT2_iii15HIP_vector_typeIjLj3EESC_SC_SC_SC_iiiiiiiiiiiDpT3_,comdat
	.globl	_ZL11k_bin_bcastIXadL_ZL6op_mulffEE6__halfS0_S0_JPKS0_S2_S2_S2_S2_S2_EEvPKT0_PKT1_PT2_iii15HIP_vector_typeIjLj3EESC_SC_SC_SC_iiiiiiiiiiiDpT3_ ; -- Begin function _ZL11k_bin_bcastIXadL_ZL6op_mulffEE6__halfS0_S0_JPKS0_S2_S2_S2_S2_S2_EEvPKT0_PKT1_PT2_iii15HIP_vector_typeIjLj3EESC_SC_SC_SC_iiiiiiiiiiiDpT3_
	.p2align	8
	.type	_ZL11k_bin_bcastIXadL_ZL6op_mulffEE6__halfS0_S0_JPKS0_S2_S2_S2_S2_S2_EEvPKT0_PKT1_PT2_iii15HIP_vector_typeIjLj3EESC_SC_SC_SC_iiiiiiiiiiiDpT3_,@function
_ZL11k_bin_bcastIXadL_ZL6op_mulffEE6__halfS0_S0_JPKS0_S2_S2_S2_S2_S2_EEvPKT0_PKT1_PT2_iii15HIP_vector_typeIjLj3EESC_SC_SC_SC_iiiiiiiiiiiDpT3_: ; @_ZL11k_bin_bcastIXadL_ZL6op_mulffEE6__halfS0_S0_JPKS0_S2_S2_S2_S2_S2_EEvPKT0_PKT1_PT2_iii15HIP_vector_typeIjLj3EESC_SC_SC_SC_iiiiiiiiiiiDpT3_
; %bb.0:
	s_clause 0x1
	s_load_b64 s[2:3], s[0:1], 0xcc
	s_load_b256 s[16:23], s[0:1], 0x18
	v_bfe_u32 v1, v0, 20, 10
	s_add_u32 s34, s0, 0xc0
	s_addc_u32 s35, s1, 0
	s_waitcnt lgkmcnt(0)
	s_and_b32 s3, s3, 0xffff
	s_delay_alu instid0(SALU_CYCLE_1) | instskip(SKIP_3) | instid1(VALU_DEP_3)
	v_mad_u64_u32 v[4:5], null, s15, s3, v[1:2]
	v_and_b32_e32 v2, 0x3ff, v0
	v_bfe_u32 v5, v0, 10, 10
	s_lshr_b32 s3, s2, 16
	v_mul_hi_u32 v1, v4, s19
	s_delay_alu instid0(VALU_DEP_1) | instskip(NEXT) | instid1(VALU_DEP_1)
	v_add_nc_u32_e32 v1, v4, v1
	v_lshrrev_b32_e32 v3, s20, v1
	s_and_b32 s20, s2, 0xffff
	s_delay_alu instid0(VALU_DEP_1) | instskip(SKIP_1) | instid1(VALU_DEP_2)
	v_mul_lo_u32 v6, v3, s21
	v_mad_u64_u32 v[0:1], null, s13, s20, v[2:3]
	v_mad_u64_u32 v[1:2], null, s14, s3, v[5:6]
	v_sub_nc_u32_e32 v4, v4, v6
	s_delay_alu instid0(VALU_DEP_3) | instskip(SKIP_1) | instid1(VALU_DEP_3)
	v_cmp_gt_u32_e32 vcc_lo, s16, v0
	v_cmp_gt_u32_e64 s3, s18, v3
	v_cmp_gt_u32_e64 s4, s21, v4
	;; [unrolled: 1-line block ×3, first 2 shown]
	s_delay_alu instid0(VALU_DEP_1)
	s_and_b32 s2, vcc_lo, s2
	s_delay_alu instid0(VALU_DEP_3) | instid1(SALU_CYCLE_1)
	s_and_b32 s2, s2, s3
	s_delay_alu instid0(VALU_DEP_2) | instid1(SALU_CYCLE_1)
	s_and_b32 s2, s2, s4
	s_delay_alu instid0(SALU_CYCLE_1)
	s_and_saveexec_b32 s3, s2
	s_cbranch_execz .LBB131_6
; %bb.1:
	v_cmp_gt_i32_e32 vcc_lo, s16, v0
	s_and_b32 exec_lo, exec_lo, vcc_lo
	s_cbranch_execz .LBB131_6
; %bb.2:
	s_clause 0x2
	s_load_b256 s[24:31], s[0:1], 0x3c
	s_load_b256 s[4:11], s[0:1], 0x60
	s_load_b128 s[36:39], s[0:1], 0x80
	s_load_b32 s17, s[34:35], 0x0
	s_clause 0x4
	s_load_b32 s21, s[0:1], 0x5c
	s_load_b64 s[18:19], s[0:1], 0x0
	s_load_b32 s33, s[0:1], 0x38
	s_load_b64 s[2:3], s[0:1], 0x10
	s_load_b128 s[12:15], s[0:1], 0xb0
	s_waitcnt lgkmcnt(0)
	v_mul_hi_u32 v2, s24, v1
	v_mul_hi_u32 v5, s27, v3
	;; [unrolled: 1-line block ×3, first 2 shown]
	v_mul_lo_u32 v9, v4, s10
	v_mul_lo_u32 v10, v3, s9
	;; [unrolled: 1-line block ×3, first 2 shown]
	v_mov_b32_e32 v6, 0
	v_mul_lo_u32 v12, v4, s6
	v_add_nc_u32_e32 v2, v1, v2
	v_add_nc_u32_e32 v5, v3, v5
	s_delay_alu instid0(VALU_DEP_4) | instskip(SKIP_1) | instid1(VALU_DEP_4)
	v_dual_mov_b32 v8, v6 :: v_dual_add_nc_u32 v7, v4, v7
	v_mul_lo_u32 v13, v3, s5
	v_lshrrev_b32_e32 v2, s25, v2
	s_delay_alu instid0(VALU_DEP_4) | instskip(NEXT) | instid1(VALU_DEP_4)
	v_lshrrev_b32_e32 v15, s28, v5
	v_lshrrev_b32_e32 v16, s31, v7
	v_add3_u32 v5, v10, v11, v9
	v_mul_lo_u32 v14, v1, s4
	v_mul_lo_u32 v9, v2, s26
	;; [unrolled: 1-line block ×4, first 2 shown]
	v_lshlrev_b64 v[5:6], 1, v[5:6]
	s_load_b256 s[24:31], s[0:1], 0x90
	s_cmp_lg_u64 s[18:19], 0
	v_mul_lo_u32 v2, s7, v0
	v_add3_u32 v7, v13, v14, v12
	v_sub_nc_u32_e32 v1, v1, v9
	v_sub_nc_u32_e32 v3, v3, v10
	;; [unrolled: 1-line block ×3, first 2 shown]
	v_add_co_u32 v9, vcc_lo, s18, v5
	v_add_co_ci_u32_e32 v5, vcc_lo, s19, v6, vcc_lo
	v_lshlrev_b64 v[7:8], 1, v[7:8]
	s_delay_alu instid0(VALU_DEP_4)
	v_mul_lo_u32 v10, v4, s38
	v_mul_lo_u32 v3, v3, s37
	;; [unrolled: 1-line block ×3, first 2 shown]
	s_cselect_b32 vcc_lo, -1, 0
	s_sub_i32 s5, 0, s33
	v_cndmask_b32_e32 v5, 0, v5, vcc_lo
	v_cndmask_b32_e32 v4, 0, v9, vcc_lo
	v_add_co_u32 v6, vcc_lo, s2, v7
	v_add_co_ci_u32_e32 v7, vcc_lo, s3, v8, vcc_lo
	s_delay_alu instid0(VALU_DEP_3)
	v_cmp_ne_u64_e32 vcc_lo, 0, v[4:5]
	v_add3_u32 v8, v3, v10, v1
	s_mul_i32 s2, s17, s20
	s_mov_b32 s3, 0
	s_mul_i32 s4, s2, s7
	s_branch .LBB131_4
.LBB131_3:                              ;   in Loop: Header=BB131_4 Depth=1
	s_or_b32 exec_lo, exec_lo, s1
	v_mul_hi_u32 v3, s22, v0
	v_add_nc_u32_e32 v2, s4, v2
	s_delay_alu instid0(VALU_DEP_2) | instskip(NEXT) | instid1(VALU_DEP_1)
	v_add_nc_u32_e32 v3, v0, v3
	v_lshrrev_b32_e32 v3, s23, v3
	s_delay_alu instid0(VALU_DEP_1) | instskip(NEXT) | instid1(VALU_DEP_1)
	v_mad_u64_u32 v[9:10], null, s5, v3, v[0:1]
	v_mul_lo_u32 v3, v9, s11
	s_delay_alu instid0(VALU_DEP_1) | instskip(NEXT) | instid1(VALU_DEP_1)
	v_add_co_u32 v9, s0, v3, v8
	v_add_co_ci_u32_e64 v10, null, 0, 0, s0
	s_delay_alu instid0(VALU_DEP_1) | instskip(SKIP_1) | instid1(VALU_DEP_1)
	v_lshlrev_b64 v[9:10], 1, v[9:10]
	s_waitcnt lgkmcnt(0)
	v_add_co_u32 v11, s0, s24, v9
	s_delay_alu instid0(VALU_DEP_1) | instskip(SKIP_1) | instid1(VALU_DEP_1)
	v_add_co_ci_u32_e64 v12, s0, s25, v10, s0
	v_add_co_u32 v13, s0, s26, v9
	v_add_co_ci_u32_e64 v14, s0, s27, v10, s0
	global_load_u16 v3, v[11:12], off
	v_add_co_u32 v11, s0, s28, v9
	s_delay_alu instid0(VALU_DEP_1) | instskip(SKIP_2) | instid1(VALU_DEP_1)
	v_add_co_ci_u32_e64 v12, s0, s29, v10, s0
	global_load_u16 v15, v[13:14], off
	v_add_co_u32 v13, s0, s30, v9
	v_add_co_ci_u32_e64 v14, s0, s31, v10, s0
	global_load_u16 v16, v[11:12], off
	v_add_co_u32 v11, s0, s12, v9
	s_delay_alu instid0(VALU_DEP_1) | instskip(SKIP_3) | instid1(VALU_DEP_1)
	v_add_co_ci_u32_e64 v12, s0, s13, v10, s0
	global_load_u16 v13, v[13:14], off
	global_load_u16 v11, v[11:12], off
	v_add_co_u32 v9, s0, s14, v9
	v_add_co_ci_u32_e64 v10, s0, s15, v10, s0
	global_load_u16 v12, v[9:10], off
	s_waitcnt vmcnt(5)
	v_cvt_f32_f16_e32 v3, v3
	s_waitcnt vmcnt(4)
	v_cvt_f32_f16_e32 v9, v15
	s_delay_alu instid0(VALU_DEP_2) | instskip(SKIP_2) | instid1(VALU_DEP_2)
	v_mul_f32_e32 v1, v1, v3
	s_waitcnt vmcnt(3)
	v_cvt_f32_f16_e32 v3, v16
	v_mul_f32_e32 v1, v1, v9
	s_waitcnt vmcnt(2)
	v_cvt_f32_f16_e32 v9, v13
	s_delay_alu instid0(VALU_DEP_2) | instskip(SKIP_3) | instid1(VALU_DEP_3)
	v_mul_f32_e32 v3, v1, v3
	v_ashrrev_i32_e32 v1, 31, v0
	s_waitcnt vmcnt(1)
	v_cvt_f32_f16_e32 v11, v11
	v_mul_f32_e32 v3, v3, v9
	s_delay_alu instid0(VALU_DEP_3) | instskip(NEXT) | instid1(VALU_DEP_2)
	v_lshlrev_b64 v[9:10], 1, v[0:1]
	v_dual_mul_f32 v1, v3, v11 :: v_dual_add_nc_u32 v0, s2, v0
	s_delay_alu instid0(VALU_DEP_1) | instskip(NEXT) | instid1(VALU_DEP_3)
	v_cmp_le_i32_e64 s0, s16, v0
	v_add_co_u32 v9, s1, v6, v9
	s_waitcnt vmcnt(0)
	s_delay_alu instid0(VALU_DEP_3)
	v_fma_mixlo_f16 v1, v1, v12, 0 op_sel_hi:[0,1,0]
	v_add_co_ci_u32_e64 v10, s1, v7, v10, s1
	s_or_b32 s3, s0, s3
	global_store_b16 v[9:10], v1, off
	s_and_not1_b32 exec_lo, exec_lo, s3
	s_cbranch_execz .LBB131_6
.LBB131_4:                              ; =>This Inner Loop Header: Depth=1
	v_mov_b32_e32 v1, 0
	s_and_saveexec_b32 s1, vcc_lo
	s_cbranch_execz .LBB131_3
; %bb.5:                                ;   in Loop: Header=BB131_4 Depth=1
	v_ashrrev_i32_e32 v3, 31, v2
	s_delay_alu instid0(VALU_DEP_1) | instskip(NEXT) | instid1(VALU_DEP_1)
	v_lshlrev_b64 v[9:10], 1, v[2:3]
	v_add_co_u32 v9, s0, v4, v9
	s_delay_alu instid0(VALU_DEP_1)
	v_add_co_ci_u32_e64 v10, s0, v5, v10, s0
	global_load_u16 v1, v[9:10], off
	s_waitcnt vmcnt(0)
	v_cvt_f32_f16_e32 v1, v1
	s_branch .LBB131_3
.LBB131_6:
	s_nop 0
	s_sendmsg sendmsg(MSG_DEALLOC_VGPRS)
	s_endpgm
	.section	.rodata,"a",@progbits
	.p2align	6, 0x0
	.amdhsa_kernel _ZL11k_bin_bcastIXadL_ZL6op_mulffEE6__halfS0_S0_JPKS0_S2_S2_S2_S2_S2_EEvPKT0_PKT1_PT2_iii15HIP_vector_typeIjLj3EESC_SC_SC_SC_iiiiiiiiiiiDpT3_
		.amdhsa_group_segment_fixed_size 0
		.amdhsa_private_segment_fixed_size 0
		.amdhsa_kernarg_size 448
		.amdhsa_user_sgpr_count 13
		.amdhsa_user_sgpr_dispatch_ptr 0
		.amdhsa_user_sgpr_queue_ptr 0
		.amdhsa_user_sgpr_kernarg_segment_ptr 1
		.amdhsa_user_sgpr_dispatch_id 0
		.amdhsa_user_sgpr_private_segment_size 0
		.amdhsa_wavefront_size32 1
		.amdhsa_uses_dynamic_stack 0
		.amdhsa_enable_private_segment 0
		.amdhsa_system_sgpr_workgroup_id_x 1
		.amdhsa_system_sgpr_workgroup_id_y 1
		.amdhsa_system_sgpr_workgroup_id_z 1
		.amdhsa_system_sgpr_workgroup_info 0
		.amdhsa_system_vgpr_workitem_id 2
		.amdhsa_next_free_vgpr 17
		.amdhsa_next_free_sgpr 40
		.amdhsa_reserve_vcc 1
		.amdhsa_float_round_mode_32 0
		.amdhsa_float_round_mode_16_64 0
		.amdhsa_float_denorm_mode_32 3
		.amdhsa_float_denorm_mode_16_64 3
		.amdhsa_dx10_clamp 1
		.amdhsa_ieee_mode 1
		.amdhsa_fp16_overflow 0
		.amdhsa_workgroup_processor_mode 1
		.amdhsa_memory_ordered 1
		.amdhsa_forward_progress 0
		.amdhsa_shared_vgpr_count 0
		.amdhsa_exception_fp_ieee_invalid_op 0
		.amdhsa_exception_fp_denorm_src 0
		.amdhsa_exception_fp_ieee_div_zero 0
		.amdhsa_exception_fp_ieee_overflow 0
		.amdhsa_exception_fp_ieee_underflow 0
		.amdhsa_exception_fp_ieee_inexact 0
		.amdhsa_exception_int_div_zero 0
	.end_amdhsa_kernel
	.section	.text._ZL11k_bin_bcastIXadL_ZL6op_mulffEE6__halfS0_S0_JPKS0_S2_S2_S2_S2_S2_EEvPKT0_PKT1_PT2_iii15HIP_vector_typeIjLj3EESC_SC_SC_SC_iiiiiiiiiiiDpT3_,"axG",@progbits,_ZL11k_bin_bcastIXadL_ZL6op_mulffEE6__halfS0_S0_JPKS0_S2_S2_S2_S2_S2_EEvPKT0_PKT1_PT2_iii15HIP_vector_typeIjLj3EESC_SC_SC_SC_iiiiiiiiiiiDpT3_,comdat
.Lfunc_end131:
	.size	_ZL11k_bin_bcastIXadL_ZL6op_mulffEE6__halfS0_S0_JPKS0_S2_S2_S2_S2_S2_EEvPKT0_PKT1_PT2_iii15HIP_vector_typeIjLj3EESC_SC_SC_SC_iiiiiiiiiiiDpT3_, .Lfunc_end131-_ZL11k_bin_bcastIXadL_ZL6op_mulffEE6__halfS0_S0_JPKS0_S2_S2_S2_S2_S2_EEvPKT0_PKT1_PT2_iii15HIP_vector_typeIjLj3EESC_SC_SC_SC_iiiiiiiiiiiDpT3_
                                        ; -- End function
	.section	.AMDGPU.csdata,"",@progbits
; Kernel info:
; codeLenInByte = 1080
; NumSgprs: 42
; NumVgprs: 17
; ScratchSize: 0
; MemoryBound: 0
; FloatMode: 240
; IeeeMode: 1
; LDSByteSize: 0 bytes/workgroup (compile time only)
; SGPRBlocks: 5
; VGPRBlocks: 2
; NumSGPRsForWavesPerEU: 42
; NumVGPRsForWavesPerEU: 17
; Occupancy: 16
; WaveLimiterHint : 1
; COMPUTE_PGM_RSRC2:SCRATCH_EN: 0
; COMPUTE_PGM_RSRC2:USER_SGPR: 13
; COMPUTE_PGM_RSRC2:TRAP_HANDLER: 0
; COMPUTE_PGM_RSRC2:TGID_X_EN: 1
; COMPUTE_PGM_RSRC2:TGID_Y_EN: 1
; COMPUTE_PGM_RSRC2:TGID_Z_EN: 1
; COMPUTE_PGM_RSRC2:TIDIG_COMP_CNT: 2
	.section	.text._ZL19k_bin_bcast_unravelIXadL_ZL6op_mulffEE6__halffS0_JPKfS2_S2_S2_S2_S2_EEvPKT0_PKT1_PT2_15HIP_vector_typeIjLj3EESC_SC_jSC_SC_SC_SC_SC_SC_iiiiiiiiiiiDpT3_,"axG",@progbits,_ZL19k_bin_bcast_unravelIXadL_ZL6op_mulffEE6__halffS0_JPKfS2_S2_S2_S2_S2_EEvPKT0_PKT1_PT2_15HIP_vector_typeIjLj3EESC_SC_jSC_SC_SC_SC_SC_SC_iiiiiiiiiiiDpT3_,comdat
	.globl	_ZL19k_bin_bcast_unravelIXadL_ZL6op_mulffEE6__halffS0_JPKfS2_S2_S2_S2_S2_EEvPKT0_PKT1_PT2_15HIP_vector_typeIjLj3EESC_SC_jSC_SC_SC_SC_SC_SC_iiiiiiiiiiiDpT3_ ; -- Begin function _ZL19k_bin_bcast_unravelIXadL_ZL6op_mulffEE6__halffS0_JPKfS2_S2_S2_S2_S2_EEvPKT0_PKT1_PT2_15HIP_vector_typeIjLj3EESC_SC_jSC_SC_SC_SC_SC_SC_iiiiiiiiiiiDpT3_
	.p2align	8
	.type	_ZL19k_bin_bcast_unravelIXadL_ZL6op_mulffEE6__halffS0_JPKfS2_S2_S2_S2_S2_EEvPKT0_PKT1_PT2_15HIP_vector_typeIjLj3EESC_SC_jSC_SC_SC_SC_SC_SC_iiiiiiiiiiiDpT3_,@function
_ZL19k_bin_bcast_unravelIXadL_ZL6op_mulffEE6__halffS0_JPKfS2_S2_S2_S2_S2_EEvPKT0_PKT1_PT2_15HIP_vector_typeIjLj3EESC_SC_jSC_SC_SC_SC_SC_SC_iiiiiiiiiiiDpT3_: ; @_ZL19k_bin_bcast_unravelIXadL_ZL6op_mulffEE6__halffS0_JPKfS2_S2_S2_S2_S2_EEvPKT0_PKT1_PT2_15HIP_vector_typeIjLj3EESC_SC_jSC_SC_SC_SC_SC_SC_iiiiiiiiiiiDpT3_
; %bb.0:
	s_clause 0x1
	s_load_b32 s2, s[0:1], 0xf4
	s_load_b256 s[4:11], s[0:1], 0x38
	s_waitcnt lgkmcnt(0)
	s_and_b32 s2, s2, 0xffff
	s_delay_alu instid0(SALU_CYCLE_1) | instskip(SKIP_3) | instid1(VALU_DEP_1)
	v_mad_u64_u32 v[2:3], null, s15, s2, v[0:1]
	s_clause 0x1
	s_load_b128 s[12:15], s[0:1], 0x18
	s_load_b32 s2, s[0:1], 0x2c
	v_mul_hi_u32 v0, v2, s6
	s_delay_alu instid0(VALU_DEP_1) | instskip(NEXT) | instid1(VALU_DEP_1)
	v_add_nc_u32_e32 v0, v2, v0
	v_lshrrev_b32_e32 v1, s7, v0
	s_delay_alu instid0(VALU_DEP_1) | instskip(NEXT) | instid1(VALU_DEP_1)
	v_mul_lo_u32 v0, v1, s8
	v_sub_nc_u32_e32 v0, v2, v0
	s_delay_alu instid0(VALU_DEP_1) | instskip(NEXT) | instid1(VALU_DEP_1)
	v_mul_hi_u32 v2, v0, s9
	v_add_nc_u32_e32 v2, v0, v2
	s_delay_alu instid0(VALU_DEP_1) | instskip(NEXT) | instid1(VALU_DEP_1)
	v_lshrrev_b32_e32 v2, s10, v2
	v_mul_lo_u32 v3, v2, s11
	v_cmp_gt_u32_e64 s3, s4, v2
	v_cmp_gt_u32_e64 s4, s5, v1
	s_delay_alu instid0(VALU_DEP_3) | instskip(SKIP_1) | instid1(VALU_DEP_1)
	v_sub_nc_u32_e32 v0, v0, v3
	s_waitcnt lgkmcnt(0)
	v_mul_hi_u32 v3, v0, s12
	s_delay_alu instid0(VALU_DEP_1) | instskip(NEXT) | instid1(VALU_DEP_1)
	v_add_nc_u32_e32 v3, v0, v3
	v_lshrrev_b32_e32 v3, s13, v3
	s_delay_alu instid0(VALU_DEP_1) | instskip(SKIP_1) | instid1(VALU_DEP_2)
	v_mul_lo_u32 v4, v3, s14
	v_cmp_gt_u32_e64 s2, s2, v3
	v_sub_nc_u32_e32 v0, v0, v4
	s_delay_alu instid0(VALU_DEP_1) | instskip(NEXT) | instid1(VALU_DEP_3)
	v_cmp_gt_u32_e32 vcc_lo, s14, v0
	s_and_b32 s2, vcc_lo, s2
	s_delay_alu instid0(SALU_CYCLE_1) | instskip(NEXT) | instid1(SALU_CYCLE_1)
	s_and_b32 s2, s2, s3
	s_and_b32 s2, s4, s2
	s_delay_alu instid0(SALU_CYCLE_1)
	s_and_saveexec_b32 s3, s2
	s_cbranch_execz .LBB132_5
; %bb.1:
	s_clause 0x4
	s_load_b64 s[2:3], s[0:1], 0x0
	s_load_b128 s[20:23], s[0:1], 0xa8
	s_load_b256 s[4:11], s[0:1], 0x88
	s_load_b128 s[24:27], s[0:1], 0x78
	s_load_b256 s[12:19], s[0:1], 0x58
	s_waitcnt lgkmcnt(0)
	s_cmp_eq_u64 s[2:3], 0
	s_cbranch_scc1 .LBB132_3
; %bb.2:
	v_mul_lo_u32 v4, v1, s10
	v_mul_lo_u32 v6, v2, s9
	v_mul_lo_u32 v7, v3, s8
	v_mov_b32_e32 v5, 0
	s_delay_alu instid0(VALU_DEP_2) | instskip(NEXT) | instid1(VALU_DEP_1)
	v_add3_u32 v4, v6, v4, v7
	v_lshlrev_b64 v[6:7], 1, v[4:5]
	v_mul_lo_u32 v4, v0, s7
	s_delay_alu instid0(VALU_DEP_2) | instskip(NEXT) | instid1(VALU_DEP_3)
	v_add_co_u32 v6, vcc_lo, s2, v6
	v_add_co_ci_u32_e32 v7, vcc_lo, s3, v7, vcc_lo
	s_delay_alu instid0(VALU_DEP_3) | instskip(NEXT) | instid1(VALU_DEP_1)
	v_lshlrev_b64 v[4:5], 1, v[4:5]
	v_add_co_u32 v4, vcc_lo, v6, v4
	s_delay_alu instid0(VALU_DEP_2)
	v_add_co_ci_u32_e32 v5, vcc_lo, v7, v5, vcc_lo
	global_load_u16 v4, v[4:5], off
	s_waitcnt vmcnt(0)
	v_cvt_f32_f16_e32 v4, v4
	s_branch .LBB132_4
.LBB132_3:
	v_mov_b32_e32 v4, 0
.LBB132_4:
	v_mul_hi_u32 v5, s25, v1
	v_mul_hi_u32 v6, s18, v2
	;; [unrolled: 1-line block ×4, first 2 shown]
	s_delay_alu instid0(VALU_DEP_4) | instskip(NEXT) | instid1(VALU_DEP_4)
	v_add_nc_u32_e32 v5, v1, v5
	v_add_nc_u32_e32 v6, v2, v6
	s_delay_alu instid0(VALU_DEP_4) | instskip(NEXT) | instid1(VALU_DEP_4)
	v_add_nc_u32_e32 v7, v3, v7
	v_add_nc_u32_e32 v8, v0, v8
	s_delay_alu instid0(VALU_DEP_4) | instskip(NEXT) | instid1(VALU_DEP_4)
	v_lshrrev_b32_e32 v5, s26, v5
	v_lshrrev_b32_e32 v6, s19, v6
	s_delay_alu instid0(VALU_DEP_4) | instskip(NEXT) | instid1(VALU_DEP_4)
	v_lshrrev_b32_e32 v7, s16, v7
	v_lshrrev_b32_e32 v8, s13, v8
	s_delay_alu instid0(VALU_DEP_4) | instskip(NEXT) | instid1(VALU_DEP_4)
	v_mul_lo_u32 v5, v5, s27
	v_mul_lo_u32 v6, v6, s24
	s_delay_alu instid0(VALU_DEP_4) | instskip(NEXT) | instid1(VALU_DEP_4)
	v_mul_lo_u32 v7, v7, s17
	v_mul_lo_u32 v8, v8, s14
	s_load_b128 s[16:19], s[0:1], 0xd8
	s_delay_alu instid0(VALU_DEP_4) | instskip(NEXT) | instid1(VALU_DEP_4)
	v_sub_nc_u32_e32 v5, v1, v5
	v_sub_nc_u32_e32 v6, v2, v6
	s_delay_alu instid0(VALU_DEP_4) | instskip(NEXT) | instid1(VALU_DEP_4)
	v_sub_nc_u32_e32 v7, v3, v7
	v_sub_nc_u32_e32 v8, v0, v8
	v_mul_lo_u32 v1, v1, s6
	v_mul_lo_u32 v5, v5, s22
	v_mul_lo_u32 v6, v6, s21
	v_mul_lo_u32 v7, v7, s20
	v_mul_lo_u32 v8, v8, s11
	s_clause 0x1
	s_load_b256 s[8:15], s[0:1], 0xb8
	s_load_b64 s[0:1], s[0:1], 0x10
	v_mul_lo_u32 v2, v2, s5
	s_delay_alu instid0(VALU_DEP_3) | instskip(NEXT) | instid1(VALU_DEP_3)
	v_add3_u32 v5, v6, v5, v7
	v_ashrrev_i32_e32 v6, 31, v8
	s_delay_alu instid0(VALU_DEP_2) | instskip(SKIP_1) | instid1(VALU_DEP_2)
	v_ashrrev_i32_e32 v7, 31, v5
	v_add_co_u32 v5, vcc_lo, v8, v5
	v_add_co_ci_u32_e32 v6, vcc_lo, v6, v7, vcc_lo
	s_delay_alu instid0(VALU_DEP_1) | instskip(SKIP_1) | instid1(VALU_DEP_1)
	v_lshlrev_b64 v[5:6], 2, v[5:6]
	s_waitcnt lgkmcnt(0)
	v_add_co_u32 v7, vcc_lo, s8, v5
	s_delay_alu instid0(VALU_DEP_2)
	v_add_co_ci_u32_e32 v8, vcc_lo, s9, v6, vcc_lo
	v_add_co_u32 v9, vcc_lo, s10, v5
	v_add_co_ci_u32_e32 v10, vcc_lo, s11, v6, vcc_lo
	global_load_b32 v11, v[7:8], off
	v_add_co_u32 v7, vcc_lo, s12, v5
	v_add_co_ci_u32_e32 v8, vcc_lo, s13, v6, vcc_lo
	global_load_b32 v12, v[9:10], off
	;; [unrolled: 3-line block ×5, first 2 shown]
	global_load_b32 v5, v[5:6], off
	v_mul_lo_u32 v6, v3, s4
	v_mov_b32_e32 v3, 0
	s_delay_alu instid0(VALU_DEP_2) | instskip(NEXT) | instid1(VALU_DEP_2)
	v_add3_u32 v2, v2, v1, v6
	v_mov_b32_e32 v1, v3
	s_delay_alu instid0(VALU_DEP_2) | instskip(NEXT) | instid1(VALU_DEP_2)
	v_lshlrev_b64 v[2:3], 1, v[2:3]
	v_lshlrev_b64 v[0:1], 1, v[0:1]
	s_delay_alu instid0(VALU_DEP_2) | instskip(NEXT) | instid1(VALU_DEP_3)
	v_add_co_u32 v2, vcc_lo, s0, v2
	v_add_co_ci_u32_e32 v3, vcc_lo, s1, v3, vcc_lo
	s_delay_alu instid0(VALU_DEP_2) | instskip(NEXT) | instid1(VALU_DEP_2)
	v_add_co_u32 v0, vcc_lo, v2, v0
	v_add_co_ci_u32_e32 v1, vcc_lo, v3, v1, vcc_lo
	s_waitcnt vmcnt(5)
	v_mul_f32_e32 v4, v4, v11
	s_waitcnt vmcnt(4)
	s_delay_alu instid0(VALU_DEP_1) | instskip(SKIP_1) | instid1(VALU_DEP_1)
	v_mul_f32_e32 v4, v4, v12
	s_waitcnt vmcnt(3)
	v_mul_f32_e32 v4, v4, v13
	s_waitcnt vmcnt(2)
	s_delay_alu instid0(VALU_DEP_1) | instskip(SKIP_1) | instid1(VALU_DEP_1)
	v_mul_f32_e32 v4, v4, v9
	s_waitcnt vmcnt(1)
	v_mul_f32_e32 v4, v4, v7
	s_waitcnt vmcnt(0)
	s_delay_alu instid0(VALU_DEP_1)
	v_fma_mixlo_f16 v4, v4, v5, 0
	global_store_b16 v[0:1], v4, off
.LBB132_5:
	s_nop 0
	s_sendmsg sendmsg(MSG_DEALLOC_VGPRS)
	s_endpgm
	.section	.rodata,"a",@progbits
	.p2align	6, 0x0
	.amdhsa_kernel _ZL19k_bin_bcast_unravelIXadL_ZL6op_mulffEE6__halffS0_JPKfS2_S2_S2_S2_S2_EEvPKT0_PKT1_PT2_15HIP_vector_typeIjLj3EESC_SC_jSC_SC_SC_SC_SC_SC_iiiiiiiiiiiDpT3_
		.amdhsa_group_segment_fixed_size 0
		.amdhsa_private_segment_fixed_size 0
		.amdhsa_kernarg_size 488
		.amdhsa_user_sgpr_count 15
		.amdhsa_user_sgpr_dispatch_ptr 0
		.amdhsa_user_sgpr_queue_ptr 0
		.amdhsa_user_sgpr_kernarg_segment_ptr 1
		.amdhsa_user_sgpr_dispatch_id 0
		.amdhsa_user_sgpr_private_segment_size 0
		.amdhsa_wavefront_size32 1
		.amdhsa_uses_dynamic_stack 0
		.amdhsa_enable_private_segment 0
		.amdhsa_system_sgpr_workgroup_id_x 1
		.amdhsa_system_sgpr_workgroup_id_y 0
		.amdhsa_system_sgpr_workgroup_id_z 0
		.amdhsa_system_sgpr_workgroup_info 0
		.amdhsa_system_vgpr_workitem_id 0
		.amdhsa_next_free_vgpr 14
		.amdhsa_next_free_sgpr 28
		.amdhsa_reserve_vcc 1
		.amdhsa_float_round_mode_32 0
		.amdhsa_float_round_mode_16_64 0
		.amdhsa_float_denorm_mode_32 3
		.amdhsa_float_denorm_mode_16_64 3
		.amdhsa_dx10_clamp 1
		.amdhsa_ieee_mode 1
		.amdhsa_fp16_overflow 0
		.amdhsa_workgroup_processor_mode 1
		.amdhsa_memory_ordered 1
		.amdhsa_forward_progress 0
		.amdhsa_shared_vgpr_count 0
		.amdhsa_exception_fp_ieee_invalid_op 0
		.amdhsa_exception_fp_denorm_src 0
		.amdhsa_exception_fp_ieee_div_zero 0
		.amdhsa_exception_fp_ieee_overflow 0
		.amdhsa_exception_fp_ieee_underflow 0
		.amdhsa_exception_fp_ieee_inexact 0
		.amdhsa_exception_int_div_zero 0
	.end_amdhsa_kernel
	.section	.text._ZL19k_bin_bcast_unravelIXadL_ZL6op_mulffEE6__halffS0_JPKfS2_S2_S2_S2_S2_EEvPKT0_PKT1_PT2_15HIP_vector_typeIjLj3EESC_SC_jSC_SC_SC_SC_SC_SC_iiiiiiiiiiiDpT3_,"axG",@progbits,_ZL19k_bin_bcast_unravelIXadL_ZL6op_mulffEE6__halffS0_JPKfS2_S2_S2_S2_S2_EEvPKT0_PKT1_PT2_15HIP_vector_typeIjLj3EESC_SC_jSC_SC_SC_SC_SC_SC_iiiiiiiiiiiDpT3_,comdat
.Lfunc_end132:
	.size	_ZL19k_bin_bcast_unravelIXadL_ZL6op_mulffEE6__halffS0_JPKfS2_S2_S2_S2_S2_EEvPKT0_PKT1_PT2_15HIP_vector_typeIjLj3EESC_SC_jSC_SC_SC_SC_SC_SC_iiiiiiiiiiiDpT3_, .Lfunc_end132-_ZL19k_bin_bcast_unravelIXadL_ZL6op_mulffEE6__halffS0_JPKfS2_S2_S2_S2_S2_EEvPKT0_PKT1_PT2_15HIP_vector_typeIjLj3EESC_SC_jSC_SC_SC_SC_SC_SC_iiiiiiiiiiiDpT3_
                                        ; -- End function
	.section	.AMDGPU.csdata,"",@progbits
; Kernel info:
; codeLenInByte = 980
; NumSgprs: 30
; NumVgprs: 14
; ScratchSize: 0
; MemoryBound: 0
; FloatMode: 240
; IeeeMode: 1
; LDSByteSize: 0 bytes/workgroup (compile time only)
; SGPRBlocks: 3
; VGPRBlocks: 1
; NumSGPRsForWavesPerEU: 30
; NumVGPRsForWavesPerEU: 14
; Occupancy: 16
; WaveLimiterHint : 1
; COMPUTE_PGM_RSRC2:SCRATCH_EN: 0
; COMPUTE_PGM_RSRC2:USER_SGPR: 15
; COMPUTE_PGM_RSRC2:TRAP_HANDLER: 0
; COMPUTE_PGM_RSRC2:TGID_X_EN: 1
; COMPUTE_PGM_RSRC2:TGID_Y_EN: 0
; COMPUTE_PGM_RSRC2:TGID_Z_EN: 0
; COMPUTE_PGM_RSRC2:TIDIG_COMP_CNT: 0
	.section	.text._ZL11k_bin_bcastIXadL_ZL6op_mulffEE6__halffS0_JPKfS2_S2_S2_S2_S2_EEvPKT0_PKT1_PT2_iii15HIP_vector_typeIjLj3EESC_SC_SC_SC_iiiiiiiiiiiDpT3_,"axG",@progbits,_ZL11k_bin_bcastIXadL_ZL6op_mulffEE6__halffS0_JPKfS2_S2_S2_S2_S2_EEvPKT0_PKT1_PT2_iii15HIP_vector_typeIjLj3EESC_SC_SC_SC_iiiiiiiiiiiDpT3_,comdat
	.globl	_ZL11k_bin_bcastIXadL_ZL6op_mulffEE6__halffS0_JPKfS2_S2_S2_S2_S2_EEvPKT0_PKT1_PT2_iii15HIP_vector_typeIjLj3EESC_SC_SC_SC_iiiiiiiiiiiDpT3_ ; -- Begin function _ZL11k_bin_bcastIXadL_ZL6op_mulffEE6__halffS0_JPKfS2_S2_S2_S2_S2_EEvPKT0_PKT1_PT2_iii15HIP_vector_typeIjLj3EESC_SC_SC_SC_iiiiiiiiiiiDpT3_
	.p2align	8
	.type	_ZL11k_bin_bcastIXadL_ZL6op_mulffEE6__halffS0_JPKfS2_S2_S2_S2_S2_EEvPKT0_PKT1_PT2_iii15HIP_vector_typeIjLj3EESC_SC_SC_SC_iiiiiiiiiiiDpT3_,@function
_ZL11k_bin_bcastIXadL_ZL6op_mulffEE6__halffS0_JPKfS2_S2_S2_S2_S2_EEvPKT0_PKT1_PT2_iii15HIP_vector_typeIjLj3EESC_SC_SC_SC_iiiiiiiiiiiDpT3_: ; @_ZL11k_bin_bcastIXadL_ZL6op_mulffEE6__halffS0_JPKfS2_S2_S2_S2_S2_EEvPKT0_PKT1_PT2_iii15HIP_vector_typeIjLj3EESC_SC_SC_SC_iiiiiiiiiiiDpT3_
; %bb.0:
	s_clause 0x1
	s_load_b64 s[2:3], s[0:1], 0xcc
	s_load_b256 s[16:23], s[0:1], 0x18
	v_bfe_u32 v1, v0, 20, 10
	s_add_u32 s34, s0, 0xc0
	s_addc_u32 s35, s1, 0
	s_waitcnt lgkmcnt(0)
	s_and_b32 s3, s3, 0xffff
	s_delay_alu instid0(SALU_CYCLE_1) | instskip(SKIP_3) | instid1(VALU_DEP_3)
	v_mad_u64_u32 v[4:5], null, s15, s3, v[1:2]
	v_and_b32_e32 v2, 0x3ff, v0
	v_bfe_u32 v5, v0, 10, 10
	s_lshr_b32 s3, s2, 16
	v_mul_hi_u32 v1, v4, s19
	s_delay_alu instid0(VALU_DEP_1) | instskip(NEXT) | instid1(VALU_DEP_1)
	v_add_nc_u32_e32 v1, v4, v1
	v_lshrrev_b32_e32 v3, s20, v1
	s_and_b32 s20, s2, 0xffff
	s_delay_alu instid0(VALU_DEP_1) | instskip(SKIP_1) | instid1(VALU_DEP_2)
	v_mul_lo_u32 v6, v3, s21
	v_mad_u64_u32 v[0:1], null, s13, s20, v[2:3]
	v_mad_u64_u32 v[1:2], null, s14, s3, v[5:6]
	v_sub_nc_u32_e32 v4, v4, v6
	s_delay_alu instid0(VALU_DEP_3) | instskip(SKIP_1) | instid1(VALU_DEP_3)
	v_cmp_gt_u32_e32 vcc_lo, s16, v0
	v_cmp_gt_u32_e64 s3, s18, v3
	v_cmp_gt_u32_e64 s4, s21, v4
	;; [unrolled: 1-line block ×3, first 2 shown]
	s_delay_alu instid0(VALU_DEP_1)
	s_and_b32 s2, vcc_lo, s2
	s_delay_alu instid0(VALU_DEP_3) | instid1(SALU_CYCLE_1)
	s_and_b32 s2, s2, s3
	s_delay_alu instid0(VALU_DEP_2) | instid1(SALU_CYCLE_1)
	s_and_b32 s2, s2, s4
	s_delay_alu instid0(SALU_CYCLE_1)
	s_and_saveexec_b32 s3, s2
	s_cbranch_execz .LBB133_6
; %bb.1:
	v_cmp_gt_i32_e32 vcc_lo, s16, v0
	s_and_b32 exec_lo, exec_lo, vcc_lo
	s_cbranch_execz .LBB133_6
; %bb.2:
	s_clause 0x2
	s_load_b256 s[24:31], s[0:1], 0x3c
	s_load_b256 s[4:11], s[0:1], 0x60
	s_load_b128 s[36:39], s[0:1], 0x80
	s_load_b32 s17, s[34:35], 0x0
	s_clause 0x4
	s_load_b32 s21, s[0:1], 0x5c
	s_load_b64 s[18:19], s[0:1], 0x0
	s_load_b32 s33, s[0:1], 0x38
	s_load_b64 s[2:3], s[0:1], 0x10
	s_load_b128 s[12:15], s[0:1], 0xb0
	s_waitcnt lgkmcnt(0)
	v_mul_hi_u32 v2, s24, v1
	v_mul_hi_u32 v5, s27, v3
	v_mul_hi_u32 v7, s30, v4
	v_mul_lo_u32 v9, v4, s10
	v_mul_lo_u32 v10, v3, s9
	;; [unrolled: 1-line block ×3, first 2 shown]
	v_mov_b32_e32 v6, 0
	v_mul_lo_u32 v12, v4, s6
	v_add_nc_u32_e32 v2, v1, v2
	v_add_nc_u32_e32 v5, v3, v5
	s_delay_alu instid0(VALU_DEP_4) | instskip(SKIP_1) | instid1(VALU_DEP_4)
	v_dual_mov_b32 v8, v6 :: v_dual_add_nc_u32 v7, v4, v7
	v_mul_lo_u32 v13, v3, s5
	v_lshrrev_b32_e32 v2, s25, v2
	s_delay_alu instid0(VALU_DEP_4) | instskip(NEXT) | instid1(VALU_DEP_4)
	v_lshrrev_b32_e32 v15, s28, v5
	v_lshrrev_b32_e32 v16, s31, v7
	v_add3_u32 v5, v10, v11, v9
	v_mul_lo_u32 v14, v1, s4
	v_mul_lo_u32 v9, v2, s26
	;; [unrolled: 1-line block ×4, first 2 shown]
	v_lshlrev_b64 v[5:6], 1, v[5:6]
	s_load_b256 s[24:31], s[0:1], 0x90
	s_cmp_lg_u64 s[18:19], 0
	v_mul_lo_u32 v2, s7, v0
	v_add3_u32 v7, v13, v14, v12
	v_sub_nc_u32_e32 v1, v1, v9
	v_sub_nc_u32_e32 v3, v3, v10
	;; [unrolled: 1-line block ×3, first 2 shown]
	v_add_co_u32 v9, vcc_lo, s18, v5
	v_add_co_ci_u32_e32 v5, vcc_lo, s19, v6, vcc_lo
	v_lshlrev_b64 v[7:8], 1, v[7:8]
	s_delay_alu instid0(VALU_DEP_4)
	v_mul_lo_u32 v10, v4, s38
	v_mul_lo_u32 v3, v3, s37
	v_mul_lo_u32 v1, v1, s36
	s_cselect_b32 vcc_lo, -1, 0
	s_sub_i32 s5, 0, s33
	v_cndmask_b32_e32 v5, 0, v5, vcc_lo
	v_cndmask_b32_e32 v4, 0, v9, vcc_lo
	v_add_co_u32 v6, vcc_lo, s2, v7
	v_add_co_ci_u32_e32 v7, vcc_lo, s3, v8, vcc_lo
	s_delay_alu instid0(VALU_DEP_3)
	v_cmp_ne_u64_e32 vcc_lo, 0, v[4:5]
	v_add3_u32 v8, v3, v10, v1
	s_mul_i32 s2, s17, s20
	s_mov_b32 s3, 0
	s_mul_i32 s4, s2, s7
	s_branch .LBB133_4
.LBB133_3:                              ;   in Loop: Header=BB133_4 Depth=1
	s_or_b32 exec_lo, exec_lo, s1
	v_mul_hi_u32 v3, s22, v0
	v_add_nc_u32_e32 v2, s4, v2
	s_delay_alu instid0(VALU_DEP_2) | instskip(NEXT) | instid1(VALU_DEP_1)
	v_add_nc_u32_e32 v3, v0, v3
	v_lshrrev_b32_e32 v3, s23, v3
	s_delay_alu instid0(VALU_DEP_1) | instskip(NEXT) | instid1(VALU_DEP_1)
	v_mad_u64_u32 v[9:10], null, s5, v3, v[0:1]
	v_mul_lo_u32 v3, v9, s11
	s_delay_alu instid0(VALU_DEP_1) | instskip(NEXT) | instid1(VALU_DEP_1)
	v_add_co_u32 v9, s0, v3, v8
	v_add_co_ci_u32_e64 v10, null, 0, 0, s0
	s_delay_alu instid0(VALU_DEP_1) | instskip(SKIP_1) | instid1(VALU_DEP_1)
	v_lshlrev_b64 v[9:10], 2, v[9:10]
	s_waitcnt lgkmcnt(0)
	v_add_co_u32 v11, s0, s24, v9
	s_delay_alu instid0(VALU_DEP_1) | instskip(SKIP_1) | instid1(VALU_DEP_1)
	v_add_co_ci_u32_e64 v12, s0, s25, v10, s0
	v_add_co_u32 v13, s0, s26, v9
	v_add_co_ci_u32_e64 v14, s0, s27, v10, s0
	global_load_b32 v3, v[11:12], off
	v_add_co_u32 v11, s0, s28, v9
	s_delay_alu instid0(VALU_DEP_1) | instskip(SKIP_2) | instid1(VALU_DEP_1)
	v_add_co_ci_u32_e64 v12, s0, s29, v10, s0
	global_load_b32 v15, v[13:14], off
	v_add_co_u32 v13, s0, s30, v9
	v_add_co_ci_u32_e64 v14, s0, s31, v10, s0
	global_load_b32 v16, v[11:12], off
	v_add_co_u32 v11, s0, s12, v9
	s_delay_alu instid0(VALU_DEP_1) | instskip(SKIP_2) | instid1(VALU_DEP_1)
	v_add_co_ci_u32_e64 v12, s0, s13, v10, s0
	global_load_b32 v13, v[13:14], off
	v_add_co_u32 v9, s0, s14, v9
	v_add_co_ci_u32_e64 v10, s0, s15, v10, s0
	global_load_b32 v11, v[11:12], off
	global_load_b32 v12, v[9:10], off
	s_waitcnt vmcnt(5)
	v_mul_f32_e32 v1, v1, v3
	s_waitcnt vmcnt(4)
	s_delay_alu instid0(VALU_DEP_1) | instskip(SKIP_1) | instid1(VALU_DEP_1)
	v_mul_f32_e32 v1, v1, v15
	s_waitcnt vmcnt(3)
	v_mul_f32_e32 v3, v1, v16
	v_ashrrev_i32_e32 v1, 31, v0
	s_waitcnt vmcnt(2)
	s_delay_alu instid0(VALU_DEP_2) | instskip(NEXT) | instid1(VALU_DEP_2)
	v_mul_f32_e32 v3, v3, v13
	v_lshlrev_b64 v[9:10], 1, v[0:1]
	s_waitcnt vmcnt(1)
	s_delay_alu instid0(VALU_DEP_2) | instskip(NEXT) | instid1(VALU_DEP_1)
	v_dual_mul_f32 v1, v3, v11 :: v_dual_add_nc_u32 v0, s2, v0
	v_cmp_le_i32_e64 s0, s16, v0
	s_delay_alu instid0(VALU_DEP_3) | instskip(NEXT) | instid1(VALU_DEP_1)
	v_add_co_u32 v9, s1, v6, v9
	v_add_co_ci_u32_e64 v10, s1, v7, v10, s1
	s_waitcnt vmcnt(0)
	v_fma_mixlo_f16 v1, v1, v12, 0
	s_or_b32 s3, s0, s3
	global_store_b16 v[9:10], v1, off
	s_and_not1_b32 exec_lo, exec_lo, s3
	s_cbranch_execz .LBB133_6
.LBB133_4:                              ; =>This Inner Loop Header: Depth=1
	v_mov_b32_e32 v1, 0
	s_and_saveexec_b32 s1, vcc_lo
	s_cbranch_execz .LBB133_3
; %bb.5:                                ;   in Loop: Header=BB133_4 Depth=1
	v_ashrrev_i32_e32 v3, 31, v2
	s_delay_alu instid0(VALU_DEP_1) | instskip(NEXT) | instid1(VALU_DEP_1)
	v_lshlrev_b64 v[9:10], 1, v[2:3]
	v_add_co_u32 v9, s0, v4, v9
	s_delay_alu instid0(VALU_DEP_1)
	v_add_co_ci_u32_e64 v10, s0, v5, v10, s0
	global_load_u16 v1, v[9:10], off
	s_waitcnt vmcnt(0)
	v_cvt_f32_f16_e32 v1, v1
	s_branch .LBB133_3
.LBB133_6:
	s_nop 0
	s_sendmsg sendmsg(MSG_DEALLOC_VGPRS)
	s_endpgm
	.section	.rodata,"a",@progbits
	.p2align	6, 0x0
	.amdhsa_kernel _ZL11k_bin_bcastIXadL_ZL6op_mulffEE6__halffS0_JPKfS2_S2_S2_S2_S2_EEvPKT0_PKT1_PT2_iii15HIP_vector_typeIjLj3EESC_SC_SC_SC_iiiiiiiiiiiDpT3_
		.amdhsa_group_segment_fixed_size 0
		.amdhsa_private_segment_fixed_size 0
		.amdhsa_kernarg_size 448
		.amdhsa_user_sgpr_count 13
		.amdhsa_user_sgpr_dispatch_ptr 0
		.amdhsa_user_sgpr_queue_ptr 0
		.amdhsa_user_sgpr_kernarg_segment_ptr 1
		.amdhsa_user_sgpr_dispatch_id 0
		.amdhsa_user_sgpr_private_segment_size 0
		.amdhsa_wavefront_size32 1
		.amdhsa_uses_dynamic_stack 0
		.amdhsa_enable_private_segment 0
		.amdhsa_system_sgpr_workgroup_id_x 1
		.amdhsa_system_sgpr_workgroup_id_y 1
		.amdhsa_system_sgpr_workgroup_id_z 1
		.amdhsa_system_sgpr_workgroup_info 0
		.amdhsa_system_vgpr_workitem_id 2
		.amdhsa_next_free_vgpr 17
		.amdhsa_next_free_sgpr 40
		.amdhsa_reserve_vcc 1
		.amdhsa_float_round_mode_32 0
		.amdhsa_float_round_mode_16_64 0
		.amdhsa_float_denorm_mode_32 3
		.amdhsa_float_denorm_mode_16_64 3
		.amdhsa_dx10_clamp 1
		.amdhsa_ieee_mode 1
		.amdhsa_fp16_overflow 0
		.amdhsa_workgroup_processor_mode 1
		.amdhsa_memory_ordered 1
		.amdhsa_forward_progress 0
		.amdhsa_shared_vgpr_count 0
		.amdhsa_exception_fp_ieee_invalid_op 0
		.amdhsa_exception_fp_denorm_src 0
		.amdhsa_exception_fp_ieee_div_zero 0
		.amdhsa_exception_fp_ieee_overflow 0
		.amdhsa_exception_fp_ieee_underflow 0
		.amdhsa_exception_fp_ieee_inexact 0
		.amdhsa_exception_int_div_zero 0
	.end_amdhsa_kernel
	.section	.text._ZL11k_bin_bcastIXadL_ZL6op_mulffEE6__halffS0_JPKfS2_S2_S2_S2_S2_EEvPKT0_PKT1_PT2_iii15HIP_vector_typeIjLj3EESC_SC_SC_SC_iiiiiiiiiiiDpT3_,"axG",@progbits,_ZL11k_bin_bcastIXadL_ZL6op_mulffEE6__halffS0_JPKfS2_S2_S2_S2_S2_EEvPKT0_PKT1_PT2_iii15HIP_vector_typeIjLj3EESC_SC_SC_SC_iiiiiiiiiiiDpT3_,comdat
.Lfunc_end133:
	.size	_ZL11k_bin_bcastIXadL_ZL6op_mulffEE6__halffS0_JPKfS2_S2_S2_S2_S2_EEvPKT0_PKT1_PT2_iii15HIP_vector_typeIjLj3EESC_SC_SC_SC_iiiiiiiiiiiDpT3_, .Lfunc_end133-_ZL11k_bin_bcastIXadL_ZL6op_mulffEE6__halffS0_JPKfS2_S2_S2_S2_S2_EEvPKT0_PKT1_PT2_iii15HIP_vector_typeIjLj3EESC_SC_SC_SC_iiiiiiiiiiiDpT3_
                                        ; -- End function
	.section	.AMDGPU.csdata,"",@progbits
; Kernel info:
; codeLenInByte = 1056
; NumSgprs: 42
; NumVgprs: 17
; ScratchSize: 0
; MemoryBound: 0
; FloatMode: 240
; IeeeMode: 1
; LDSByteSize: 0 bytes/workgroup (compile time only)
; SGPRBlocks: 5
; VGPRBlocks: 2
; NumSGPRsForWavesPerEU: 42
; NumVGPRsForWavesPerEU: 17
; Occupancy: 16
; WaveLimiterHint : 1
; COMPUTE_PGM_RSRC2:SCRATCH_EN: 0
; COMPUTE_PGM_RSRC2:USER_SGPR: 13
; COMPUTE_PGM_RSRC2:TRAP_HANDLER: 0
; COMPUTE_PGM_RSRC2:TGID_X_EN: 1
; COMPUTE_PGM_RSRC2:TGID_Y_EN: 1
; COMPUTE_PGM_RSRC2:TGID_Z_EN: 1
; COMPUTE_PGM_RSRC2:TIDIG_COMP_CNT: 2
	.section	.text._ZL19k_bin_bcast_unravelIXadL_ZL6op_mulffEE6__halfffJPKfS2_S2_S2_S2_S2_EEvPKT0_PKT1_PT2_15HIP_vector_typeIjLj3EESC_SC_jSC_SC_SC_SC_SC_SC_iiiiiiiiiiiDpT3_,"axG",@progbits,_ZL19k_bin_bcast_unravelIXadL_ZL6op_mulffEE6__halfffJPKfS2_S2_S2_S2_S2_EEvPKT0_PKT1_PT2_15HIP_vector_typeIjLj3EESC_SC_jSC_SC_SC_SC_SC_SC_iiiiiiiiiiiDpT3_,comdat
	.globl	_ZL19k_bin_bcast_unravelIXadL_ZL6op_mulffEE6__halfffJPKfS2_S2_S2_S2_S2_EEvPKT0_PKT1_PT2_15HIP_vector_typeIjLj3EESC_SC_jSC_SC_SC_SC_SC_SC_iiiiiiiiiiiDpT3_ ; -- Begin function _ZL19k_bin_bcast_unravelIXadL_ZL6op_mulffEE6__halfffJPKfS2_S2_S2_S2_S2_EEvPKT0_PKT1_PT2_15HIP_vector_typeIjLj3EESC_SC_jSC_SC_SC_SC_SC_SC_iiiiiiiiiiiDpT3_
	.p2align	8
	.type	_ZL19k_bin_bcast_unravelIXadL_ZL6op_mulffEE6__halfffJPKfS2_S2_S2_S2_S2_EEvPKT0_PKT1_PT2_15HIP_vector_typeIjLj3EESC_SC_jSC_SC_SC_SC_SC_SC_iiiiiiiiiiiDpT3_,@function
_ZL19k_bin_bcast_unravelIXadL_ZL6op_mulffEE6__halfffJPKfS2_S2_S2_S2_S2_EEvPKT0_PKT1_PT2_15HIP_vector_typeIjLj3EESC_SC_jSC_SC_SC_SC_SC_SC_iiiiiiiiiiiDpT3_: ; @_ZL19k_bin_bcast_unravelIXadL_ZL6op_mulffEE6__halfffJPKfS2_S2_S2_S2_S2_EEvPKT0_PKT1_PT2_15HIP_vector_typeIjLj3EESC_SC_jSC_SC_SC_SC_SC_SC_iiiiiiiiiiiDpT3_
; %bb.0:
	s_clause 0x1
	s_load_b32 s2, s[0:1], 0xf4
	s_load_b256 s[4:11], s[0:1], 0x38
	s_waitcnt lgkmcnt(0)
	s_and_b32 s2, s2, 0xffff
	s_delay_alu instid0(SALU_CYCLE_1) | instskip(SKIP_3) | instid1(VALU_DEP_1)
	v_mad_u64_u32 v[2:3], null, s15, s2, v[0:1]
	s_clause 0x1
	s_load_b128 s[12:15], s[0:1], 0x18
	s_load_b32 s2, s[0:1], 0x2c
	v_mul_hi_u32 v0, v2, s6
	s_delay_alu instid0(VALU_DEP_1) | instskip(NEXT) | instid1(VALU_DEP_1)
	v_add_nc_u32_e32 v0, v2, v0
	v_lshrrev_b32_e32 v1, s7, v0
	s_delay_alu instid0(VALU_DEP_1) | instskip(NEXT) | instid1(VALU_DEP_1)
	v_mul_lo_u32 v0, v1, s8
	v_sub_nc_u32_e32 v0, v2, v0
	s_delay_alu instid0(VALU_DEP_1) | instskip(NEXT) | instid1(VALU_DEP_1)
	v_mul_hi_u32 v2, v0, s9
	v_add_nc_u32_e32 v2, v0, v2
	s_delay_alu instid0(VALU_DEP_1) | instskip(NEXT) | instid1(VALU_DEP_1)
	v_lshrrev_b32_e32 v2, s10, v2
	v_mul_lo_u32 v3, v2, s11
	v_cmp_gt_u32_e64 s3, s4, v2
	v_cmp_gt_u32_e64 s4, s5, v1
	s_delay_alu instid0(VALU_DEP_3) | instskip(SKIP_1) | instid1(VALU_DEP_1)
	v_sub_nc_u32_e32 v0, v0, v3
	s_waitcnt lgkmcnt(0)
	v_mul_hi_u32 v3, v0, s12
	s_delay_alu instid0(VALU_DEP_1) | instskip(NEXT) | instid1(VALU_DEP_1)
	v_add_nc_u32_e32 v3, v0, v3
	v_lshrrev_b32_e32 v3, s13, v3
	s_delay_alu instid0(VALU_DEP_1) | instskip(SKIP_1) | instid1(VALU_DEP_2)
	v_mul_lo_u32 v4, v3, s14
	v_cmp_gt_u32_e64 s2, s2, v3
	v_sub_nc_u32_e32 v0, v0, v4
	s_delay_alu instid0(VALU_DEP_1) | instskip(NEXT) | instid1(VALU_DEP_3)
	v_cmp_gt_u32_e32 vcc_lo, s14, v0
	s_and_b32 s2, vcc_lo, s2
	s_delay_alu instid0(SALU_CYCLE_1) | instskip(NEXT) | instid1(SALU_CYCLE_1)
	s_and_b32 s2, s2, s3
	s_and_b32 s2, s4, s2
	s_delay_alu instid0(SALU_CYCLE_1)
	s_and_saveexec_b32 s3, s2
	s_cbranch_execz .LBB134_5
; %bb.1:
	s_clause 0x4
	s_load_b64 s[2:3], s[0:1], 0x0
	s_load_b128 s[20:23], s[0:1], 0xa8
	s_load_b256 s[4:11], s[0:1], 0x88
	s_load_b128 s[24:27], s[0:1], 0x78
	s_load_b256 s[12:19], s[0:1], 0x58
	s_waitcnt lgkmcnt(0)
	s_cmp_eq_u64 s[2:3], 0
	s_cbranch_scc1 .LBB134_3
; %bb.2:
	v_mul_lo_u32 v4, v1, s10
	v_mul_lo_u32 v6, v2, s9
	;; [unrolled: 1-line block ×3, first 2 shown]
	v_mov_b32_e32 v5, 0
	s_delay_alu instid0(VALU_DEP_2) | instskip(NEXT) | instid1(VALU_DEP_1)
	v_add3_u32 v4, v6, v4, v7
	v_lshlrev_b64 v[6:7], 1, v[4:5]
	v_mul_lo_u32 v4, v0, s7
	s_delay_alu instid0(VALU_DEP_2) | instskip(NEXT) | instid1(VALU_DEP_3)
	v_add_co_u32 v6, vcc_lo, s2, v6
	v_add_co_ci_u32_e32 v7, vcc_lo, s3, v7, vcc_lo
	s_delay_alu instid0(VALU_DEP_3) | instskip(NEXT) | instid1(VALU_DEP_1)
	v_lshlrev_b64 v[4:5], 1, v[4:5]
	v_add_co_u32 v4, vcc_lo, v6, v4
	s_delay_alu instid0(VALU_DEP_2)
	v_add_co_ci_u32_e32 v5, vcc_lo, v7, v5, vcc_lo
	global_load_u16 v4, v[4:5], off
	s_waitcnt vmcnt(0)
	v_cvt_f32_f16_e32 v4, v4
	s_branch .LBB134_4
.LBB134_3:
	v_mov_b32_e32 v4, 0
.LBB134_4:
	v_mul_hi_u32 v5, s25, v1
	v_mul_hi_u32 v6, s18, v2
	;; [unrolled: 1-line block ×4, first 2 shown]
	s_delay_alu instid0(VALU_DEP_4) | instskip(NEXT) | instid1(VALU_DEP_4)
	v_add_nc_u32_e32 v5, v1, v5
	v_add_nc_u32_e32 v6, v2, v6
	s_delay_alu instid0(VALU_DEP_4) | instskip(NEXT) | instid1(VALU_DEP_4)
	v_add_nc_u32_e32 v7, v3, v7
	v_add_nc_u32_e32 v8, v0, v8
	s_delay_alu instid0(VALU_DEP_4) | instskip(NEXT) | instid1(VALU_DEP_4)
	v_lshrrev_b32_e32 v5, s26, v5
	v_lshrrev_b32_e32 v6, s19, v6
	s_delay_alu instid0(VALU_DEP_4) | instskip(NEXT) | instid1(VALU_DEP_4)
	v_lshrrev_b32_e32 v7, s16, v7
	v_lshrrev_b32_e32 v8, s13, v8
	s_delay_alu instid0(VALU_DEP_4) | instskip(NEXT) | instid1(VALU_DEP_4)
	v_mul_lo_u32 v5, v5, s27
	v_mul_lo_u32 v6, v6, s24
	s_delay_alu instid0(VALU_DEP_4) | instskip(NEXT) | instid1(VALU_DEP_4)
	v_mul_lo_u32 v7, v7, s17
	v_mul_lo_u32 v8, v8, s14
	s_load_b128 s[16:19], s[0:1], 0xd8
	s_delay_alu instid0(VALU_DEP_4) | instskip(NEXT) | instid1(VALU_DEP_4)
	v_sub_nc_u32_e32 v5, v1, v5
	v_sub_nc_u32_e32 v6, v2, v6
	s_delay_alu instid0(VALU_DEP_4) | instskip(NEXT) | instid1(VALU_DEP_4)
	v_sub_nc_u32_e32 v7, v3, v7
	v_sub_nc_u32_e32 v8, v0, v8
	v_mul_lo_u32 v1, v1, s6
	v_mul_lo_u32 v5, v5, s22
	;; [unrolled: 1-line block ×5, first 2 shown]
	s_clause 0x1
	s_load_b256 s[8:15], s[0:1], 0xb8
	s_load_b64 s[0:1], s[0:1], 0x10
	v_mul_lo_u32 v2, v2, s5
	s_delay_alu instid0(VALU_DEP_3) | instskip(NEXT) | instid1(VALU_DEP_3)
	v_add3_u32 v5, v6, v5, v7
	v_ashrrev_i32_e32 v6, 31, v8
	s_delay_alu instid0(VALU_DEP_2) | instskip(SKIP_1) | instid1(VALU_DEP_2)
	v_ashrrev_i32_e32 v7, 31, v5
	v_add_co_u32 v5, vcc_lo, v8, v5
	v_add_co_ci_u32_e32 v6, vcc_lo, v6, v7, vcc_lo
	s_delay_alu instid0(VALU_DEP_1) | instskip(SKIP_1) | instid1(VALU_DEP_1)
	v_lshlrev_b64 v[5:6], 2, v[5:6]
	s_waitcnt lgkmcnt(0)
	v_add_co_u32 v7, vcc_lo, s8, v5
	s_delay_alu instid0(VALU_DEP_2)
	v_add_co_ci_u32_e32 v8, vcc_lo, s9, v6, vcc_lo
	v_add_co_u32 v9, vcc_lo, s10, v5
	v_add_co_ci_u32_e32 v10, vcc_lo, s11, v6, vcc_lo
	global_load_b32 v11, v[7:8], off
	v_add_co_u32 v7, vcc_lo, s12, v5
	v_add_co_ci_u32_e32 v8, vcc_lo, s13, v6, vcc_lo
	global_load_b32 v12, v[9:10], off
	;; [unrolled: 3-line block ×5, first 2 shown]
	global_load_b32 v5, v[5:6], off
	v_mul_lo_u32 v6, v3, s4
	v_mov_b32_e32 v3, 0
	s_delay_alu instid0(VALU_DEP_2) | instskip(NEXT) | instid1(VALU_DEP_2)
	v_add3_u32 v2, v2, v1, v6
	v_mov_b32_e32 v1, v3
	s_delay_alu instid0(VALU_DEP_2) | instskip(NEXT) | instid1(VALU_DEP_2)
	v_lshlrev_b64 v[2:3], 2, v[2:3]
	v_lshlrev_b64 v[0:1], 2, v[0:1]
	s_delay_alu instid0(VALU_DEP_2) | instskip(NEXT) | instid1(VALU_DEP_3)
	v_add_co_u32 v2, vcc_lo, s0, v2
	v_add_co_ci_u32_e32 v3, vcc_lo, s1, v3, vcc_lo
	s_delay_alu instid0(VALU_DEP_2) | instskip(NEXT) | instid1(VALU_DEP_2)
	v_add_co_u32 v0, vcc_lo, v2, v0
	v_add_co_ci_u32_e32 v1, vcc_lo, v3, v1, vcc_lo
	s_waitcnt vmcnt(5)
	v_mul_f32_e32 v4, v4, v11
	s_waitcnt vmcnt(4)
	s_delay_alu instid0(VALU_DEP_1) | instskip(SKIP_1) | instid1(VALU_DEP_1)
	v_mul_f32_e32 v4, v4, v12
	s_waitcnt vmcnt(3)
	v_mul_f32_e32 v4, v4, v13
	s_waitcnt vmcnt(2)
	s_delay_alu instid0(VALU_DEP_1) | instskip(SKIP_1) | instid1(VALU_DEP_1)
	v_mul_f32_e32 v4, v4, v9
	s_waitcnt vmcnt(1)
	v_mul_f32_e32 v4, v4, v7
	s_waitcnt vmcnt(0)
	s_delay_alu instid0(VALU_DEP_1)
	v_mul_f32_e32 v4, v4, v5
	global_store_b32 v[0:1], v4, off
.LBB134_5:
	s_nop 0
	s_sendmsg sendmsg(MSG_DEALLOC_VGPRS)
	s_endpgm
	.section	.rodata,"a",@progbits
	.p2align	6, 0x0
	.amdhsa_kernel _ZL19k_bin_bcast_unravelIXadL_ZL6op_mulffEE6__halfffJPKfS2_S2_S2_S2_S2_EEvPKT0_PKT1_PT2_15HIP_vector_typeIjLj3EESC_SC_jSC_SC_SC_SC_SC_SC_iiiiiiiiiiiDpT3_
		.amdhsa_group_segment_fixed_size 0
		.amdhsa_private_segment_fixed_size 0
		.amdhsa_kernarg_size 488
		.amdhsa_user_sgpr_count 15
		.amdhsa_user_sgpr_dispatch_ptr 0
		.amdhsa_user_sgpr_queue_ptr 0
		.amdhsa_user_sgpr_kernarg_segment_ptr 1
		.amdhsa_user_sgpr_dispatch_id 0
		.amdhsa_user_sgpr_private_segment_size 0
		.amdhsa_wavefront_size32 1
		.amdhsa_uses_dynamic_stack 0
		.amdhsa_enable_private_segment 0
		.amdhsa_system_sgpr_workgroup_id_x 1
		.amdhsa_system_sgpr_workgroup_id_y 0
		.amdhsa_system_sgpr_workgroup_id_z 0
		.amdhsa_system_sgpr_workgroup_info 0
		.amdhsa_system_vgpr_workitem_id 0
		.amdhsa_next_free_vgpr 14
		.amdhsa_next_free_sgpr 28
		.amdhsa_reserve_vcc 1
		.amdhsa_float_round_mode_32 0
		.amdhsa_float_round_mode_16_64 0
		.amdhsa_float_denorm_mode_32 3
		.amdhsa_float_denorm_mode_16_64 3
		.amdhsa_dx10_clamp 1
		.amdhsa_ieee_mode 1
		.amdhsa_fp16_overflow 0
		.amdhsa_workgroup_processor_mode 1
		.amdhsa_memory_ordered 1
		.amdhsa_forward_progress 0
		.amdhsa_shared_vgpr_count 0
		.amdhsa_exception_fp_ieee_invalid_op 0
		.amdhsa_exception_fp_denorm_src 0
		.amdhsa_exception_fp_ieee_div_zero 0
		.amdhsa_exception_fp_ieee_overflow 0
		.amdhsa_exception_fp_ieee_underflow 0
		.amdhsa_exception_fp_ieee_inexact 0
		.amdhsa_exception_int_div_zero 0
	.end_amdhsa_kernel
	.section	.text._ZL19k_bin_bcast_unravelIXadL_ZL6op_mulffEE6__halfffJPKfS2_S2_S2_S2_S2_EEvPKT0_PKT1_PT2_15HIP_vector_typeIjLj3EESC_SC_jSC_SC_SC_SC_SC_SC_iiiiiiiiiiiDpT3_,"axG",@progbits,_ZL19k_bin_bcast_unravelIXadL_ZL6op_mulffEE6__halfffJPKfS2_S2_S2_S2_S2_EEvPKT0_PKT1_PT2_15HIP_vector_typeIjLj3EESC_SC_jSC_SC_SC_SC_SC_SC_iiiiiiiiiiiDpT3_,comdat
.Lfunc_end134:
	.size	_ZL19k_bin_bcast_unravelIXadL_ZL6op_mulffEE6__halfffJPKfS2_S2_S2_S2_S2_EEvPKT0_PKT1_PT2_15HIP_vector_typeIjLj3EESC_SC_jSC_SC_SC_SC_SC_SC_iiiiiiiiiiiDpT3_, .Lfunc_end134-_ZL19k_bin_bcast_unravelIXadL_ZL6op_mulffEE6__halfffJPKfS2_S2_S2_S2_S2_EEvPKT0_PKT1_PT2_15HIP_vector_typeIjLj3EESC_SC_jSC_SC_SC_SC_SC_SC_iiiiiiiiiiiDpT3_
                                        ; -- End function
	.section	.AMDGPU.csdata,"",@progbits
; Kernel info:
; codeLenInByte = 976
; NumSgprs: 30
; NumVgprs: 14
; ScratchSize: 0
; MemoryBound: 0
; FloatMode: 240
; IeeeMode: 1
; LDSByteSize: 0 bytes/workgroup (compile time only)
; SGPRBlocks: 3
; VGPRBlocks: 1
; NumSGPRsForWavesPerEU: 30
; NumVGPRsForWavesPerEU: 14
; Occupancy: 16
; WaveLimiterHint : 1
; COMPUTE_PGM_RSRC2:SCRATCH_EN: 0
; COMPUTE_PGM_RSRC2:USER_SGPR: 15
; COMPUTE_PGM_RSRC2:TRAP_HANDLER: 0
; COMPUTE_PGM_RSRC2:TGID_X_EN: 1
; COMPUTE_PGM_RSRC2:TGID_Y_EN: 0
; COMPUTE_PGM_RSRC2:TGID_Z_EN: 0
; COMPUTE_PGM_RSRC2:TIDIG_COMP_CNT: 0
	.section	.text._ZL11k_bin_bcastIXadL_ZL6op_mulffEE6__halfffJPKfS2_S2_S2_S2_S2_EEvPKT0_PKT1_PT2_iii15HIP_vector_typeIjLj3EESC_SC_SC_SC_iiiiiiiiiiiDpT3_,"axG",@progbits,_ZL11k_bin_bcastIXadL_ZL6op_mulffEE6__halfffJPKfS2_S2_S2_S2_S2_EEvPKT0_PKT1_PT2_iii15HIP_vector_typeIjLj3EESC_SC_SC_SC_iiiiiiiiiiiDpT3_,comdat
	.globl	_ZL11k_bin_bcastIXadL_ZL6op_mulffEE6__halfffJPKfS2_S2_S2_S2_S2_EEvPKT0_PKT1_PT2_iii15HIP_vector_typeIjLj3EESC_SC_SC_SC_iiiiiiiiiiiDpT3_ ; -- Begin function _ZL11k_bin_bcastIXadL_ZL6op_mulffEE6__halfffJPKfS2_S2_S2_S2_S2_EEvPKT0_PKT1_PT2_iii15HIP_vector_typeIjLj3EESC_SC_SC_SC_iiiiiiiiiiiDpT3_
	.p2align	8
	.type	_ZL11k_bin_bcastIXadL_ZL6op_mulffEE6__halfffJPKfS2_S2_S2_S2_S2_EEvPKT0_PKT1_PT2_iii15HIP_vector_typeIjLj3EESC_SC_SC_SC_iiiiiiiiiiiDpT3_,@function
_ZL11k_bin_bcastIXadL_ZL6op_mulffEE6__halfffJPKfS2_S2_S2_S2_S2_EEvPKT0_PKT1_PT2_iii15HIP_vector_typeIjLj3EESC_SC_SC_SC_iiiiiiiiiiiDpT3_: ; @_ZL11k_bin_bcastIXadL_ZL6op_mulffEE6__halfffJPKfS2_S2_S2_S2_S2_EEvPKT0_PKT1_PT2_iii15HIP_vector_typeIjLj3EESC_SC_SC_SC_iiiiiiiiiiiDpT3_
; %bb.0:
	s_clause 0x1
	s_load_b64 s[2:3], s[0:1], 0xcc
	s_load_b256 s[16:23], s[0:1], 0x18
	v_bfe_u32 v1, v0, 20, 10
	s_add_u32 s34, s0, 0xc0
	s_addc_u32 s35, s1, 0
	s_waitcnt lgkmcnt(0)
	s_and_b32 s3, s3, 0xffff
	s_delay_alu instid0(SALU_CYCLE_1) | instskip(SKIP_3) | instid1(VALU_DEP_3)
	v_mad_u64_u32 v[4:5], null, s15, s3, v[1:2]
	v_and_b32_e32 v2, 0x3ff, v0
	v_bfe_u32 v5, v0, 10, 10
	s_lshr_b32 s3, s2, 16
	v_mul_hi_u32 v1, v4, s19
	s_delay_alu instid0(VALU_DEP_1) | instskip(NEXT) | instid1(VALU_DEP_1)
	v_add_nc_u32_e32 v1, v4, v1
	v_lshrrev_b32_e32 v3, s20, v1
	s_and_b32 s20, s2, 0xffff
	s_delay_alu instid0(VALU_DEP_1) | instskip(SKIP_1) | instid1(VALU_DEP_2)
	v_mul_lo_u32 v6, v3, s21
	v_mad_u64_u32 v[0:1], null, s13, s20, v[2:3]
	v_mad_u64_u32 v[1:2], null, s14, s3, v[5:6]
	v_sub_nc_u32_e32 v4, v4, v6
	s_delay_alu instid0(VALU_DEP_3) | instskip(SKIP_1) | instid1(VALU_DEP_3)
	v_cmp_gt_u32_e32 vcc_lo, s16, v0
	v_cmp_gt_u32_e64 s3, s18, v3
	v_cmp_gt_u32_e64 s4, s21, v4
	;; [unrolled: 1-line block ×3, first 2 shown]
	s_delay_alu instid0(VALU_DEP_1)
	s_and_b32 s2, vcc_lo, s2
	s_delay_alu instid0(VALU_DEP_3) | instid1(SALU_CYCLE_1)
	s_and_b32 s2, s2, s3
	s_delay_alu instid0(VALU_DEP_2) | instid1(SALU_CYCLE_1)
	s_and_b32 s2, s2, s4
	s_delay_alu instid0(SALU_CYCLE_1)
	s_and_saveexec_b32 s3, s2
	s_cbranch_execz .LBB135_6
; %bb.1:
	v_cmp_gt_i32_e32 vcc_lo, s16, v0
	s_and_b32 exec_lo, exec_lo, vcc_lo
	s_cbranch_execz .LBB135_6
; %bb.2:
	s_clause 0x2
	s_load_b256 s[24:31], s[0:1], 0x3c
	s_load_b256 s[4:11], s[0:1], 0x60
	s_load_b128 s[36:39], s[0:1], 0x80
	s_load_b32 s17, s[34:35], 0x0
	s_clause 0x4
	s_load_b32 s21, s[0:1], 0x5c
	s_load_b64 s[18:19], s[0:1], 0x0
	s_load_b32 s33, s[0:1], 0x38
	s_load_b64 s[2:3], s[0:1], 0x10
	s_load_b128 s[12:15], s[0:1], 0xb0
	s_waitcnt lgkmcnt(0)
	v_mul_hi_u32 v2, s24, v1
	v_mul_hi_u32 v5, s27, v3
	;; [unrolled: 1-line block ×3, first 2 shown]
	v_mul_lo_u32 v9, v4, s10
	v_mul_lo_u32 v10, v3, s9
	;; [unrolled: 1-line block ×3, first 2 shown]
	v_mov_b32_e32 v6, 0
	v_mul_lo_u32 v12, v4, s6
	v_add_nc_u32_e32 v2, v1, v2
	v_add_nc_u32_e32 v5, v3, v5
	s_delay_alu instid0(VALU_DEP_4) | instskip(SKIP_1) | instid1(VALU_DEP_4)
	v_dual_mov_b32 v8, v6 :: v_dual_add_nc_u32 v7, v4, v7
	v_mul_lo_u32 v13, v3, s5
	v_lshrrev_b32_e32 v2, s25, v2
	s_delay_alu instid0(VALU_DEP_4) | instskip(NEXT) | instid1(VALU_DEP_4)
	v_lshrrev_b32_e32 v15, s28, v5
	v_lshrrev_b32_e32 v16, s31, v7
	v_add3_u32 v5, v10, v11, v9
	v_mul_lo_u32 v14, v1, s4
	v_mul_lo_u32 v9, v2, s26
	;; [unrolled: 1-line block ×4, first 2 shown]
	v_lshlrev_b64 v[5:6], 1, v[5:6]
	s_load_b256 s[24:31], s[0:1], 0x90
	s_cmp_lg_u64 s[18:19], 0
	v_mul_lo_u32 v2, s7, v0
	v_add3_u32 v7, v13, v14, v12
	v_sub_nc_u32_e32 v1, v1, v9
	v_sub_nc_u32_e32 v3, v3, v10
	;; [unrolled: 1-line block ×3, first 2 shown]
	v_add_co_u32 v9, vcc_lo, s18, v5
	v_add_co_ci_u32_e32 v5, vcc_lo, s19, v6, vcc_lo
	v_lshlrev_b64 v[7:8], 2, v[7:8]
	s_delay_alu instid0(VALU_DEP_4)
	v_mul_lo_u32 v10, v4, s38
	v_mul_lo_u32 v3, v3, s37
	;; [unrolled: 1-line block ×3, first 2 shown]
	s_cselect_b32 vcc_lo, -1, 0
	s_sub_i32 s5, 0, s33
	v_cndmask_b32_e32 v5, 0, v5, vcc_lo
	v_cndmask_b32_e32 v4, 0, v9, vcc_lo
	v_add_co_u32 v6, vcc_lo, s2, v7
	v_add_co_ci_u32_e32 v7, vcc_lo, s3, v8, vcc_lo
	s_delay_alu instid0(VALU_DEP_3)
	v_cmp_ne_u64_e32 vcc_lo, 0, v[4:5]
	v_add3_u32 v8, v3, v10, v1
	s_mul_i32 s2, s17, s20
	s_mov_b32 s3, 0
	s_mul_i32 s4, s2, s7
	s_branch .LBB135_4
.LBB135_3:                              ;   in Loop: Header=BB135_4 Depth=1
	s_or_b32 exec_lo, exec_lo, s1
	v_mul_hi_u32 v3, s22, v0
	v_add_nc_u32_e32 v2, s4, v2
	s_delay_alu instid0(VALU_DEP_2) | instskip(NEXT) | instid1(VALU_DEP_1)
	v_add_nc_u32_e32 v3, v0, v3
	v_lshrrev_b32_e32 v3, s23, v3
	s_delay_alu instid0(VALU_DEP_1) | instskip(NEXT) | instid1(VALU_DEP_1)
	v_mad_u64_u32 v[9:10], null, s5, v3, v[0:1]
	v_mul_lo_u32 v3, v9, s11
	s_delay_alu instid0(VALU_DEP_1) | instskip(NEXT) | instid1(VALU_DEP_1)
	v_add_co_u32 v9, s0, v3, v8
	v_add_co_ci_u32_e64 v10, null, 0, 0, s0
	s_delay_alu instid0(VALU_DEP_1) | instskip(SKIP_1) | instid1(VALU_DEP_1)
	v_lshlrev_b64 v[9:10], 2, v[9:10]
	s_waitcnt lgkmcnt(0)
	v_add_co_u32 v11, s0, s24, v9
	s_delay_alu instid0(VALU_DEP_1) | instskip(SKIP_1) | instid1(VALU_DEP_1)
	v_add_co_ci_u32_e64 v12, s0, s25, v10, s0
	v_add_co_u32 v13, s0, s26, v9
	v_add_co_ci_u32_e64 v14, s0, s27, v10, s0
	global_load_b32 v3, v[11:12], off
	v_add_co_u32 v11, s0, s28, v9
	s_delay_alu instid0(VALU_DEP_1) | instskip(SKIP_2) | instid1(VALU_DEP_1)
	v_add_co_ci_u32_e64 v12, s0, s29, v10, s0
	global_load_b32 v15, v[13:14], off
	v_add_co_u32 v13, s0, s30, v9
	v_add_co_ci_u32_e64 v14, s0, s31, v10, s0
	global_load_b32 v16, v[11:12], off
	v_add_co_u32 v11, s0, s12, v9
	s_delay_alu instid0(VALU_DEP_1) | instskip(SKIP_2) | instid1(VALU_DEP_1)
	v_add_co_ci_u32_e64 v12, s0, s13, v10, s0
	global_load_b32 v13, v[13:14], off
	v_add_co_u32 v9, s0, s14, v9
	v_add_co_ci_u32_e64 v10, s0, s15, v10, s0
	global_load_b32 v11, v[11:12], off
	global_load_b32 v12, v[9:10], off
	s_waitcnt vmcnt(5)
	v_mul_f32_e32 v1, v1, v3
	s_waitcnt vmcnt(4)
	s_delay_alu instid0(VALU_DEP_1) | instskip(SKIP_1) | instid1(VALU_DEP_1)
	v_mul_f32_e32 v1, v1, v15
	s_waitcnt vmcnt(3)
	v_mul_f32_e32 v3, v1, v16
	v_ashrrev_i32_e32 v1, 31, v0
	s_waitcnt vmcnt(2)
	s_delay_alu instid0(VALU_DEP_2) | instskip(NEXT) | instid1(VALU_DEP_2)
	v_mul_f32_e32 v3, v3, v13
	v_lshlrev_b64 v[9:10], 2, v[0:1]
	s_waitcnt vmcnt(1)
	s_delay_alu instid0(VALU_DEP_2) | instskip(NEXT) | instid1(VALU_DEP_1)
	v_dual_mul_f32 v1, v3, v11 :: v_dual_add_nc_u32 v0, s2, v0
	v_cmp_le_i32_e64 s0, s16, v0
	s_delay_alu instid0(VALU_DEP_3) | instskip(NEXT) | instid1(VALU_DEP_1)
	v_add_co_u32 v9, s1, v6, v9
	v_add_co_ci_u32_e64 v10, s1, v7, v10, s1
	s_waitcnt vmcnt(0)
	v_mul_f32_e32 v1, v1, v12
	s_or_b32 s3, s0, s3
	global_store_b32 v[9:10], v1, off
	s_and_not1_b32 exec_lo, exec_lo, s3
	s_cbranch_execz .LBB135_6
.LBB135_4:                              ; =>This Inner Loop Header: Depth=1
	v_mov_b32_e32 v1, 0
	s_and_saveexec_b32 s1, vcc_lo
	s_cbranch_execz .LBB135_3
; %bb.5:                                ;   in Loop: Header=BB135_4 Depth=1
	v_ashrrev_i32_e32 v3, 31, v2
	s_delay_alu instid0(VALU_DEP_1) | instskip(NEXT) | instid1(VALU_DEP_1)
	v_lshlrev_b64 v[9:10], 1, v[2:3]
	v_add_co_u32 v9, s0, v4, v9
	s_delay_alu instid0(VALU_DEP_1)
	v_add_co_ci_u32_e64 v10, s0, v5, v10, s0
	global_load_u16 v1, v[9:10], off
	s_waitcnt vmcnt(0)
	v_cvt_f32_f16_e32 v1, v1
	s_branch .LBB135_3
.LBB135_6:
	s_nop 0
	s_sendmsg sendmsg(MSG_DEALLOC_VGPRS)
	s_endpgm
	.section	.rodata,"a",@progbits
	.p2align	6, 0x0
	.amdhsa_kernel _ZL11k_bin_bcastIXadL_ZL6op_mulffEE6__halfffJPKfS2_S2_S2_S2_S2_EEvPKT0_PKT1_PT2_iii15HIP_vector_typeIjLj3EESC_SC_SC_SC_iiiiiiiiiiiDpT3_
		.amdhsa_group_segment_fixed_size 0
		.amdhsa_private_segment_fixed_size 0
		.amdhsa_kernarg_size 448
		.amdhsa_user_sgpr_count 13
		.amdhsa_user_sgpr_dispatch_ptr 0
		.amdhsa_user_sgpr_queue_ptr 0
		.amdhsa_user_sgpr_kernarg_segment_ptr 1
		.amdhsa_user_sgpr_dispatch_id 0
		.amdhsa_user_sgpr_private_segment_size 0
		.amdhsa_wavefront_size32 1
		.amdhsa_uses_dynamic_stack 0
		.amdhsa_enable_private_segment 0
		.amdhsa_system_sgpr_workgroup_id_x 1
		.amdhsa_system_sgpr_workgroup_id_y 1
		.amdhsa_system_sgpr_workgroup_id_z 1
		.amdhsa_system_sgpr_workgroup_info 0
		.amdhsa_system_vgpr_workitem_id 2
		.amdhsa_next_free_vgpr 17
		.amdhsa_next_free_sgpr 40
		.amdhsa_reserve_vcc 1
		.amdhsa_float_round_mode_32 0
		.amdhsa_float_round_mode_16_64 0
		.amdhsa_float_denorm_mode_32 3
		.amdhsa_float_denorm_mode_16_64 3
		.amdhsa_dx10_clamp 1
		.amdhsa_ieee_mode 1
		.amdhsa_fp16_overflow 0
		.amdhsa_workgroup_processor_mode 1
		.amdhsa_memory_ordered 1
		.amdhsa_forward_progress 0
		.amdhsa_shared_vgpr_count 0
		.amdhsa_exception_fp_ieee_invalid_op 0
		.amdhsa_exception_fp_denorm_src 0
		.amdhsa_exception_fp_ieee_div_zero 0
		.amdhsa_exception_fp_ieee_overflow 0
		.amdhsa_exception_fp_ieee_underflow 0
		.amdhsa_exception_fp_ieee_inexact 0
		.amdhsa_exception_int_div_zero 0
	.end_amdhsa_kernel
	.section	.text._ZL11k_bin_bcastIXadL_ZL6op_mulffEE6__halfffJPKfS2_S2_S2_S2_S2_EEvPKT0_PKT1_PT2_iii15HIP_vector_typeIjLj3EESC_SC_SC_SC_iiiiiiiiiiiDpT3_,"axG",@progbits,_ZL11k_bin_bcastIXadL_ZL6op_mulffEE6__halfffJPKfS2_S2_S2_S2_S2_EEvPKT0_PKT1_PT2_iii15HIP_vector_typeIjLj3EESC_SC_SC_SC_iiiiiiiiiiiDpT3_,comdat
.Lfunc_end135:
	.size	_ZL11k_bin_bcastIXadL_ZL6op_mulffEE6__halfffJPKfS2_S2_S2_S2_S2_EEvPKT0_PKT1_PT2_iii15HIP_vector_typeIjLj3EESC_SC_SC_SC_iiiiiiiiiiiDpT3_, .Lfunc_end135-_ZL11k_bin_bcastIXadL_ZL6op_mulffEE6__halfffJPKfS2_S2_S2_S2_S2_EEvPKT0_PKT1_PT2_iii15HIP_vector_typeIjLj3EESC_SC_SC_SC_iiiiiiiiiiiDpT3_
                                        ; -- End function
	.section	.AMDGPU.csdata,"",@progbits
; Kernel info:
; codeLenInByte = 1052
; NumSgprs: 42
; NumVgprs: 17
; ScratchSize: 0
; MemoryBound: 0
; FloatMode: 240
; IeeeMode: 1
; LDSByteSize: 0 bytes/workgroup (compile time only)
; SGPRBlocks: 5
; VGPRBlocks: 2
; NumSGPRsForWavesPerEU: 42
; NumVGPRsForWavesPerEU: 17
; Occupancy: 16
; WaveLimiterHint : 1
; COMPUTE_PGM_RSRC2:SCRATCH_EN: 0
; COMPUTE_PGM_RSRC2:USER_SGPR: 13
; COMPUTE_PGM_RSRC2:TRAP_HANDLER: 0
; COMPUTE_PGM_RSRC2:TGID_X_EN: 1
; COMPUTE_PGM_RSRC2:TGID_Y_EN: 1
; COMPUTE_PGM_RSRC2:TGID_Z_EN: 1
; COMPUTE_PGM_RSRC2:TIDIG_COMP_CNT: 2
	.section	.text._ZL19k_bin_bcast_unravelIXadL_ZL6op_mulffEEfffJPKfS1_S1_S1_S1_S1_S1_EEvPKT0_PKT1_PT2_15HIP_vector_typeIjLj3EESB_SB_jSB_SB_SB_SB_SB_SB_iiiiiiiiiiiDpT3_,"axG",@progbits,_ZL19k_bin_bcast_unravelIXadL_ZL6op_mulffEEfffJPKfS1_S1_S1_S1_S1_S1_EEvPKT0_PKT1_PT2_15HIP_vector_typeIjLj3EESB_SB_jSB_SB_SB_SB_SB_SB_iiiiiiiiiiiDpT3_,comdat
	.globl	_ZL19k_bin_bcast_unravelIXadL_ZL6op_mulffEEfffJPKfS1_S1_S1_S1_S1_S1_EEvPKT0_PKT1_PT2_15HIP_vector_typeIjLj3EESB_SB_jSB_SB_SB_SB_SB_SB_iiiiiiiiiiiDpT3_ ; -- Begin function _ZL19k_bin_bcast_unravelIXadL_ZL6op_mulffEEfffJPKfS1_S1_S1_S1_S1_S1_EEvPKT0_PKT1_PT2_15HIP_vector_typeIjLj3EESB_SB_jSB_SB_SB_SB_SB_SB_iiiiiiiiiiiDpT3_
	.p2align	8
	.type	_ZL19k_bin_bcast_unravelIXadL_ZL6op_mulffEEfffJPKfS1_S1_S1_S1_S1_S1_EEvPKT0_PKT1_PT2_15HIP_vector_typeIjLj3EESB_SB_jSB_SB_SB_SB_SB_SB_iiiiiiiiiiiDpT3_,@function
_ZL19k_bin_bcast_unravelIXadL_ZL6op_mulffEEfffJPKfS1_S1_S1_S1_S1_S1_EEvPKT0_PKT1_PT2_15HIP_vector_typeIjLj3EESB_SB_jSB_SB_SB_SB_SB_SB_iiiiiiiiiiiDpT3_: ; @_ZL19k_bin_bcast_unravelIXadL_ZL6op_mulffEEfffJPKfS1_S1_S1_S1_S1_S1_EEvPKT0_PKT1_PT2_15HIP_vector_typeIjLj3EESB_SB_jSB_SB_SB_SB_SB_SB_iiiiiiiiiiiDpT3_
; %bb.0:
	s_clause 0x1
	s_load_b32 s2, s[0:1], 0xfc
	s_load_b256 s[4:11], s[0:1], 0x38
	s_waitcnt lgkmcnt(0)
	s_and_b32 s2, s2, 0xffff
	s_delay_alu instid0(SALU_CYCLE_1) | instskip(SKIP_3) | instid1(VALU_DEP_1)
	v_mad_u64_u32 v[2:3], null, s15, s2, v[0:1]
	s_clause 0x1
	s_load_b128 s[12:15], s[0:1], 0x18
	s_load_b32 s2, s[0:1], 0x2c
	v_mul_hi_u32 v0, v2, s6
	s_delay_alu instid0(VALU_DEP_1) | instskip(NEXT) | instid1(VALU_DEP_1)
	v_add_nc_u32_e32 v0, v2, v0
	v_lshrrev_b32_e32 v1, s7, v0
	s_delay_alu instid0(VALU_DEP_1) | instskip(NEXT) | instid1(VALU_DEP_1)
	v_mul_lo_u32 v0, v1, s8
	v_sub_nc_u32_e32 v0, v2, v0
	s_delay_alu instid0(VALU_DEP_1) | instskip(NEXT) | instid1(VALU_DEP_1)
	v_mul_hi_u32 v2, v0, s9
	v_add_nc_u32_e32 v2, v0, v2
	s_delay_alu instid0(VALU_DEP_1) | instskip(NEXT) | instid1(VALU_DEP_1)
	v_lshrrev_b32_e32 v2, s10, v2
	v_mul_lo_u32 v3, v2, s11
	v_cmp_gt_u32_e64 s3, s4, v2
	v_cmp_gt_u32_e64 s4, s5, v1
	s_delay_alu instid0(VALU_DEP_3) | instskip(SKIP_1) | instid1(VALU_DEP_1)
	v_sub_nc_u32_e32 v0, v0, v3
	s_waitcnt lgkmcnt(0)
	v_mul_hi_u32 v3, v0, s12
	s_delay_alu instid0(VALU_DEP_1) | instskip(NEXT) | instid1(VALU_DEP_1)
	v_add_nc_u32_e32 v3, v0, v3
	v_lshrrev_b32_e32 v3, s13, v3
	s_delay_alu instid0(VALU_DEP_1) | instskip(SKIP_1) | instid1(VALU_DEP_2)
	v_mul_lo_u32 v4, v3, s14
	v_cmp_gt_u32_e64 s2, s2, v3
	v_sub_nc_u32_e32 v0, v0, v4
	s_delay_alu instid0(VALU_DEP_1) | instskip(NEXT) | instid1(VALU_DEP_3)
	v_cmp_gt_u32_e32 vcc_lo, s14, v0
	s_and_b32 s2, vcc_lo, s2
	s_delay_alu instid0(SALU_CYCLE_1) | instskip(NEXT) | instid1(SALU_CYCLE_1)
	s_and_b32 s2, s2, s3
	s_and_b32 s2, s4, s2
	s_delay_alu instid0(SALU_CYCLE_1)
	s_and_saveexec_b32 s3, s2
	s_cbranch_execz .LBB136_5
; %bb.1:
	s_clause 0x4
	s_load_b64 s[2:3], s[0:1], 0x0
	s_load_b128 s[20:23], s[0:1], 0xa8
	s_load_b256 s[4:11], s[0:1], 0x88
	s_load_b128 s[24:27], s[0:1], 0x78
	s_load_b256 s[12:19], s[0:1], 0x58
	s_waitcnt lgkmcnt(0)
	s_cmp_eq_u64 s[2:3], 0
	s_cbranch_scc1 .LBB136_3
; %bb.2:
	v_mul_lo_u32 v4, v1, s10
	v_mul_lo_u32 v6, v2, s9
	;; [unrolled: 1-line block ×3, first 2 shown]
	v_mov_b32_e32 v5, 0
	s_delay_alu instid0(VALU_DEP_2) | instskip(NEXT) | instid1(VALU_DEP_1)
	v_add3_u32 v4, v6, v4, v7
	v_lshlrev_b64 v[6:7], 2, v[4:5]
	v_mul_lo_u32 v4, v0, s7
	s_delay_alu instid0(VALU_DEP_2) | instskip(NEXT) | instid1(VALU_DEP_3)
	v_add_co_u32 v6, vcc_lo, s2, v6
	v_add_co_ci_u32_e32 v7, vcc_lo, s3, v7, vcc_lo
	s_delay_alu instid0(VALU_DEP_3) | instskip(NEXT) | instid1(VALU_DEP_1)
	v_lshlrev_b64 v[4:5], 2, v[4:5]
	v_add_co_u32 v4, vcc_lo, v6, v4
	s_delay_alu instid0(VALU_DEP_2)
	v_add_co_ci_u32_e32 v5, vcc_lo, v7, v5, vcc_lo
	global_load_b32 v4, v[4:5], off
	s_branch .LBB136_4
.LBB136_3:
	v_mov_b32_e32 v4, 0
.LBB136_4:
	v_mul_hi_u32 v5, s25, v1
	v_mul_hi_u32 v6, s18, v2
	;; [unrolled: 1-line block ×4, first 2 shown]
	s_delay_alu instid0(VALU_DEP_4) | instskip(NEXT) | instid1(VALU_DEP_4)
	v_add_nc_u32_e32 v5, v1, v5
	v_add_nc_u32_e32 v6, v2, v6
	s_delay_alu instid0(VALU_DEP_4) | instskip(NEXT) | instid1(VALU_DEP_4)
	v_add_nc_u32_e32 v7, v3, v7
	v_add_nc_u32_e32 v8, v0, v8
	s_delay_alu instid0(VALU_DEP_4) | instskip(NEXT) | instid1(VALU_DEP_4)
	v_lshrrev_b32_e32 v5, s26, v5
	v_lshrrev_b32_e32 v6, s19, v6
	s_delay_alu instid0(VALU_DEP_4) | instskip(NEXT) | instid1(VALU_DEP_4)
	v_lshrrev_b32_e32 v7, s16, v7
	v_lshrrev_b32_e32 v8, s13, v8
	s_delay_alu instid0(VALU_DEP_4) | instskip(NEXT) | instid1(VALU_DEP_4)
	v_mul_lo_u32 v5, v5, s27
	v_mul_lo_u32 v6, v6, s24
	s_delay_alu instid0(VALU_DEP_4) | instskip(NEXT) | instid1(VALU_DEP_4)
	v_mul_lo_u32 v7, v7, s17
	v_mul_lo_u32 v8, v8, s14
	s_clause 0x1
	s_load_b64 s[2:3], s[0:1], 0xe8
	s_load_b128 s[16:19], s[0:1], 0xd8
	s_delay_alu instid0(VALU_DEP_4) | instskip(NEXT) | instid1(VALU_DEP_4)
	v_sub_nc_u32_e32 v5, v1, v5
	v_sub_nc_u32_e32 v6, v2, v6
	s_delay_alu instid0(VALU_DEP_4) | instskip(NEXT) | instid1(VALU_DEP_4)
	v_sub_nc_u32_e32 v7, v3, v7
	v_sub_nc_u32_e32 v8, v0, v8
	v_mul_lo_u32 v1, v1, s6
	v_mul_lo_u32 v5, v5, s22
	;; [unrolled: 1-line block ×5, first 2 shown]
	s_clause 0x1
	s_load_b256 s[8:15], s[0:1], 0xb8
	s_load_b64 s[0:1], s[0:1], 0x10
	v_mul_lo_u32 v2, v2, s5
	s_delay_alu instid0(VALU_DEP_3) | instskip(NEXT) | instid1(VALU_DEP_3)
	v_add3_u32 v5, v6, v5, v7
	v_ashrrev_i32_e32 v6, 31, v8
	s_delay_alu instid0(VALU_DEP_2) | instskip(SKIP_1) | instid1(VALU_DEP_2)
	v_ashrrev_i32_e32 v7, 31, v5
	v_add_co_u32 v5, vcc_lo, v8, v5
	v_add_co_ci_u32_e32 v6, vcc_lo, v6, v7, vcc_lo
	s_delay_alu instid0(VALU_DEP_1) | instskip(SKIP_1) | instid1(VALU_DEP_1)
	v_lshlrev_b64 v[5:6], 2, v[5:6]
	s_waitcnt lgkmcnt(0)
	v_add_co_u32 v7, vcc_lo, s8, v5
	s_delay_alu instid0(VALU_DEP_2)
	v_add_co_ci_u32_e32 v8, vcc_lo, s9, v6, vcc_lo
	v_add_co_u32 v9, vcc_lo, s10, v5
	v_add_co_ci_u32_e32 v10, vcc_lo, s11, v6, vcc_lo
	global_load_b32 v11, v[7:8], off
	v_add_co_u32 v7, vcc_lo, s12, v5
	v_add_co_ci_u32_e32 v8, vcc_lo, s13, v6, vcc_lo
	global_load_b32 v12, v[9:10], off
	;; [unrolled: 3-line block ×6, first 2 shown]
	global_load_b32 v5, v[5:6], off
	v_mul_lo_u32 v6, v3, s4
	v_mov_b32_e32 v3, 0
	s_delay_alu instid0(VALU_DEP_2) | instskip(NEXT) | instid1(VALU_DEP_2)
	v_add3_u32 v2, v2, v1, v6
	v_mov_b32_e32 v1, v3
	s_delay_alu instid0(VALU_DEP_2) | instskip(NEXT) | instid1(VALU_DEP_2)
	v_lshlrev_b64 v[2:3], 2, v[2:3]
	v_lshlrev_b64 v[0:1], 2, v[0:1]
	s_delay_alu instid0(VALU_DEP_2) | instskip(NEXT) | instid1(VALU_DEP_3)
	v_add_co_u32 v2, vcc_lo, s0, v2
	v_add_co_ci_u32_e32 v3, vcc_lo, s1, v3, vcc_lo
	s_delay_alu instid0(VALU_DEP_2) | instskip(NEXT) | instid1(VALU_DEP_2)
	v_add_co_u32 v0, vcc_lo, v2, v0
	v_add_co_ci_u32_e32 v1, vcc_lo, v3, v1, vcc_lo
	s_waitcnt vmcnt(6)
	v_mul_f32_e32 v4, v4, v11
	s_waitcnt vmcnt(5)
	s_delay_alu instid0(VALU_DEP_1) | instskip(SKIP_1) | instid1(VALU_DEP_1)
	v_mul_f32_e32 v4, v4, v12
	s_waitcnt vmcnt(4)
	v_mul_f32_e32 v4, v4, v13
	s_waitcnt vmcnt(3)
	s_delay_alu instid0(VALU_DEP_1) | instskip(SKIP_1) | instid1(VALU_DEP_1)
	v_mul_f32_e32 v4, v4, v14
	;; [unrolled: 5-line block ×3, first 2 shown]
	s_waitcnt vmcnt(0)
	v_mul_f32_e32 v4, v4, v5
	global_store_b32 v[0:1], v4, off
.LBB136_5:
	s_nop 0
	s_sendmsg sendmsg(MSG_DEALLOC_VGPRS)
	s_endpgm
	.section	.rodata,"a",@progbits
	.p2align	6, 0x0
	.amdhsa_kernel _ZL19k_bin_bcast_unravelIXadL_ZL6op_mulffEEfffJPKfS1_S1_S1_S1_S1_S1_EEvPKT0_PKT1_PT2_15HIP_vector_typeIjLj3EESB_SB_jSB_SB_SB_SB_SB_SB_iiiiiiiiiiiDpT3_
		.amdhsa_group_segment_fixed_size 0
		.amdhsa_private_segment_fixed_size 0
		.amdhsa_kernarg_size 496
		.amdhsa_user_sgpr_count 15
		.amdhsa_user_sgpr_dispatch_ptr 0
		.amdhsa_user_sgpr_queue_ptr 0
		.amdhsa_user_sgpr_kernarg_segment_ptr 1
		.amdhsa_user_sgpr_dispatch_id 0
		.amdhsa_user_sgpr_private_segment_size 0
		.amdhsa_wavefront_size32 1
		.amdhsa_uses_dynamic_stack 0
		.amdhsa_enable_private_segment 0
		.amdhsa_system_sgpr_workgroup_id_x 1
		.amdhsa_system_sgpr_workgroup_id_y 0
		.amdhsa_system_sgpr_workgroup_id_z 0
		.amdhsa_system_sgpr_workgroup_info 0
		.amdhsa_system_vgpr_workitem_id 0
		.amdhsa_next_free_vgpr 15
		.amdhsa_next_free_sgpr 28
		.amdhsa_reserve_vcc 1
		.amdhsa_float_round_mode_32 0
		.amdhsa_float_round_mode_16_64 0
		.amdhsa_float_denorm_mode_32 3
		.amdhsa_float_denorm_mode_16_64 3
		.amdhsa_dx10_clamp 1
		.amdhsa_ieee_mode 1
		.amdhsa_fp16_overflow 0
		.amdhsa_workgroup_processor_mode 1
		.amdhsa_memory_ordered 1
		.amdhsa_forward_progress 0
		.amdhsa_shared_vgpr_count 0
		.amdhsa_exception_fp_ieee_invalid_op 0
		.amdhsa_exception_fp_denorm_src 0
		.amdhsa_exception_fp_ieee_div_zero 0
		.amdhsa_exception_fp_ieee_overflow 0
		.amdhsa_exception_fp_ieee_underflow 0
		.amdhsa_exception_fp_ieee_inexact 0
		.amdhsa_exception_int_div_zero 0
	.end_amdhsa_kernel
	.section	.text._ZL19k_bin_bcast_unravelIXadL_ZL6op_mulffEEfffJPKfS1_S1_S1_S1_S1_S1_EEvPKT0_PKT1_PT2_15HIP_vector_typeIjLj3EESB_SB_jSB_SB_SB_SB_SB_SB_iiiiiiiiiiiDpT3_,"axG",@progbits,_ZL19k_bin_bcast_unravelIXadL_ZL6op_mulffEEfffJPKfS1_S1_S1_S1_S1_S1_EEvPKT0_PKT1_PT2_15HIP_vector_typeIjLj3EESB_SB_jSB_SB_SB_SB_SB_SB_iiiiiiiiiiiDpT3_,comdat
.Lfunc_end136:
	.size	_ZL19k_bin_bcast_unravelIXadL_ZL6op_mulffEEfffJPKfS1_S1_S1_S1_S1_S1_EEvPKT0_PKT1_PT2_15HIP_vector_typeIjLj3EESB_SB_jSB_SB_SB_SB_SB_SB_iiiiiiiiiiiDpT3_, .Lfunc_end136-_ZL19k_bin_bcast_unravelIXadL_ZL6op_mulffEEfffJPKfS1_S1_S1_S1_S1_S1_EEvPKT0_PKT1_PT2_15HIP_vector_typeIjLj3EESB_SB_jSB_SB_SB_SB_SB_SB_iiiiiiiiiiiDpT3_
                                        ; -- End function
	.section	.AMDGPU.csdata,"",@progbits
; Kernel info:
; codeLenInByte = 1008
; NumSgprs: 30
; NumVgprs: 15
; ScratchSize: 0
; MemoryBound: 0
; FloatMode: 240
; IeeeMode: 1
; LDSByteSize: 0 bytes/workgroup (compile time only)
; SGPRBlocks: 3
; VGPRBlocks: 1
; NumSGPRsForWavesPerEU: 30
; NumVGPRsForWavesPerEU: 15
; Occupancy: 16
; WaveLimiterHint : 1
; COMPUTE_PGM_RSRC2:SCRATCH_EN: 0
; COMPUTE_PGM_RSRC2:USER_SGPR: 15
; COMPUTE_PGM_RSRC2:TRAP_HANDLER: 0
; COMPUTE_PGM_RSRC2:TGID_X_EN: 1
; COMPUTE_PGM_RSRC2:TGID_Y_EN: 0
; COMPUTE_PGM_RSRC2:TGID_Z_EN: 0
; COMPUTE_PGM_RSRC2:TIDIG_COMP_CNT: 0
	.section	.text._ZL11k_bin_bcastIXadL_ZL6op_mulffEEfffJPKfS1_S1_S1_S1_S1_S1_EEvPKT0_PKT1_PT2_iii15HIP_vector_typeIjLj3EESB_SB_SB_SB_iiiiiiiiiiiDpT3_,"axG",@progbits,_ZL11k_bin_bcastIXadL_ZL6op_mulffEEfffJPKfS1_S1_S1_S1_S1_S1_EEvPKT0_PKT1_PT2_iii15HIP_vector_typeIjLj3EESB_SB_SB_SB_iiiiiiiiiiiDpT3_,comdat
	.globl	_ZL11k_bin_bcastIXadL_ZL6op_mulffEEfffJPKfS1_S1_S1_S1_S1_S1_EEvPKT0_PKT1_PT2_iii15HIP_vector_typeIjLj3EESB_SB_SB_SB_iiiiiiiiiiiDpT3_ ; -- Begin function _ZL11k_bin_bcastIXadL_ZL6op_mulffEEfffJPKfS1_S1_S1_S1_S1_S1_EEvPKT0_PKT1_PT2_iii15HIP_vector_typeIjLj3EESB_SB_SB_SB_iiiiiiiiiiiDpT3_
	.p2align	8
	.type	_ZL11k_bin_bcastIXadL_ZL6op_mulffEEfffJPKfS1_S1_S1_S1_S1_S1_EEvPKT0_PKT1_PT2_iii15HIP_vector_typeIjLj3EESB_SB_SB_SB_iiiiiiiiiiiDpT3_,@function
_ZL11k_bin_bcastIXadL_ZL6op_mulffEEfffJPKfS1_S1_S1_S1_S1_S1_EEvPKT0_PKT1_PT2_iii15HIP_vector_typeIjLj3EESB_SB_SB_SB_iiiiiiiiiiiDpT3_: ; @_ZL11k_bin_bcastIXadL_ZL6op_mulffEEfffJPKfS1_S1_S1_S1_S1_S1_EEvPKT0_PKT1_PT2_iii15HIP_vector_typeIjLj3EESB_SB_SB_SB_iiiiiiiiiiiDpT3_
; %bb.0:
	s_clause 0x1
	s_load_b64 s[2:3], s[0:1], 0xd4
	s_load_b256 s[16:23], s[0:1], 0x18
	v_bfe_u32 v1, v0, 20, 10
	s_add_u32 s24, s0, 0xc8
	s_addc_u32 s25, s1, 0
	s_waitcnt lgkmcnt(0)
	s_and_b32 s3, s3, 0xffff
	s_delay_alu instid0(SALU_CYCLE_1) | instskip(SKIP_3) | instid1(VALU_DEP_3)
	v_mad_u64_u32 v[4:5], null, s15, s3, v[1:2]
	v_and_b32_e32 v2, 0x3ff, v0
	v_bfe_u32 v5, v0, 10, 10
	s_lshr_b32 s3, s2, 16
	v_mul_hi_u32 v1, v4, s19
	s_delay_alu instid0(VALU_DEP_1) | instskip(NEXT) | instid1(VALU_DEP_1)
	v_add_nc_u32_e32 v1, v4, v1
	v_lshrrev_b32_e32 v3, s20, v1
	s_and_b32 s20, s2, 0xffff
	s_delay_alu instid0(VALU_DEP_1) | instskip(SKIP_1) | instid1(VALU_DEP_2)
	v_mul_lo_u32 v6, v3, s21
	v_mad_u64_u32 v[0:1], null, s13, s20, v[2:3]
	v_mad_u64_u32 v[1:2], null, s14, s3, v[5:6]
	v_sub_nc_u32_e32 v4, v4, v6
	s_delay_alu instid0(VALU_DEP_3) | instskip(SKIP_1) | instid1(VALU_DEP_3)
	v_cmp_gt_u32_e32 vcc_lo, s16, v0
	v_cmp_gt_u32_e64 s3, s18, v3
	v_cmp_gt_u32_e64 s4, s21, v4
	;; [unrolled: 1-line block ×3, first 2 shown]
	s_delay_alu instid0(VALU_DEP_1)
	s_and_b32 s2, vcc_lo, s2
	s_delay_alu instid0(VALU_DEP_3) | instid1(SALU_CYCLE_1)
	s_and_b32 s2, s2, s3
	s_delay_alu instid0(VALU_DEP_2) | instid1(SALU_CYCLE_1)
	s_and_b32 s2, s2, s4
	s_delay_alu instid0(SALU_CYCLE_1)
	s_and_saveexec_b32 s3, s2
	s_cbranch_execz .LBB137_6
; %bb.1:
	v_cmp_gt_i32_e32 vcc_lo, s16, v0
	s_and_b32 exec_lo, exec_lo, vcc_lo
	s_cbranch_execz .LBB137_6
; %bb.2:
	s_clause 0x2
	s_load_b256 s[36:43], s[0:1], 0x3c
	s_load_b256 s[4:11], s[0:1], 0x60
	s_load_b128 s[12:15], s[0:1], 0x80
	s_waitcnt lgkmcnt(0)
	s_load_b32 s15, s[24:25], 0x0
	s_clause 0x4
	s_load_b32 s17, s[0:1], 0x5c
	s_load_b64 s[18:19], s[0:1], 0x0
	s_load_b32 s21, s[0:1], 0x38
	s_load_b64 s[2:3], s[0:1], 0x10
	s_load_b256 s[24:31], s[0:1], 0xb0
	v_mul_hi_u32 v2, s36, v1
	v_mul_hi_u32 v5, s39, v3
	;; [unrolled: 1-line block ×3, first 2 shown]
	v_mul_lo_u32 v9, v4, s10
	v_mul_lo_u32 v10, v3, s9
	;; [unrolled: 1-line block ×3, first 2 shown]
	v_mov_b32_e32 v6, 0
	v_mul_lo_u32 v12, v4, s6
	v_add_nc_u32_e32 v2, v1, v2
	v_add_nc_u32_e32 v5, v3, v5
	s_delay_alu instid0(VALU_DEP_4) | instskip(SKIP_1) | instid1(VALU_DEP_4)
	v_dual_mov_b32 v8, v6 :: v_dual_add_nc_u32 v7, v4, v7
	v_mul_lo_u32 v13, v3, s5
	v_lshrrev_b32_e32 v2, s37, v2
	s_delay_alu instid0(VALU_DEP_4) | instskip(NEXT) | instid1(VALU_DEP_4)
	v_lshrrev_b32_e32 v15, s40, v5
	v_lshrrev_b32_e32 v16, s43, v7
	v_add3_u32 v5, v10, v11, v9
	v_mul_lo_u32 v14, v1, s4
	v_mul_lo_u32 v9, v2, s38
	;; [unrolled: 1-line block ×3, first 2 shown]
	s_waitcnt lgkmcnt(0)
	v_mul_lo_u32 v11, v16, s17
	v_lshlrev_b64 v[5:6], 2, v[5:6]
	s_load_b256 s[36:43], s[0:1], 0x90
	s_cmp_lg_u64 s[18:19], 0
	v_mul_lo_u32 v2, s7, v0
	v_add3_u32 v7, v13, v14, v12
	v_sub_nc_u32_e32 v1, v1, v9
	v_sub_nc_u32_e32 v3, v3, v10
	;; [unrolled: 1-line block ×3, first 2 shown]
	v_add_co_u32 v9, vcc_lo, s18, v5
	v_add_co_ci_u32_e32 v5, vcc_lo, s19, v6, vcc_lo
	v_lshlrev_b64 v[7:8], 2, v[7:8]
	s_delay_alu instid0(VALU_DEP_4)
	v_mul_lo_u32 v10, v4, s14
	v_mul_lo_u32 v3, v3, s13
	;; [unrolled: 1-line block ×3, first 2 shown]
	s_cselect_b32 vcc_lo, -1, 0
	s_sub_i32 s5, 0, s21
	v_cndmask_b32_e32 v5, 0, v5, vcc_lo
	v_cndmask_b32_e32 v4, 0, v9, vcc_lo
	v_add_co_u32 v6, vcc_lo, s2, v7
	v_add_co_ci_u32_e32 v7, vcc_lo, s3, v8, vcc_lo
	s_delay_alu instid0(VALU_DEP_3)
	v_cmp_ne_u64_e32 vcc_lo, 0, v[4:5]
	v_add3_u32 v8, v3, v10, v1
	s_mul_i32 s2, s15, s20
	s_mov_b32 s3, 0
	s_mul_i32 s4, s2, s7
	s_branch .LBB137_4
.LBB137_3:                              ;   in Loop: Header=BB137_4 Depth=1
	s_or_b32 exec_lo, exec_lo, s1
	v_mul_hi_u32 v3, s22, v0
	v_add_nc_u32_e32 v2, s4, v2
	s_delay_alu instid0(VALU_DEP_2) | instskip(NEXT) | instid1(VALU_DEP_1)
	v_add_nc_u32_e32 v3, v0, v3
	v_lshrrev_b32_e32 v3, s23, v3
	s_waitcnt vmcnt(0)
	s_delay_alu instid0(VALU_DEP_1) | instskip(NEXT) | instid1(VALU_DEP_1)
	v_mad_u64_u32 v[9:10], null, s5, v3, v[0:1]
	v_mul_lo_u32 v3, v9, s11
	s_delay_alu instid0(VALU_DEP_1) | instskip(NEXT) | instid1(VALU_DEP_1)
	v_add_co_u32 v9, s0, v3, v8
	v_add_co_ci_u32_e64 v10, null, 0, 0, s0
	s_delay_alu instid0(VALU_DEP_1) | instskip(SKIP_1) | instid1(VALU_DEP_1)
	v_lshlrev_b64 v[9:10], 2, v[9:10]
	s_waitcnt lgkmcnt(0)
	v_add_co_u32 v11, s0, s36, v9
	s_delay_alu instid0(VALU_DEP_1) | instskip(SKIP_1) | instid1(VALU_DEP_1)
	v_add_co_ci_u32_e64 v12, s0, s37, v10, s0
	v_add_co_u32 v13, s0, s38, v9
	v_add_co_ci_u32_e64 v14, s0, s39, v10, s0
	global_load_b32 v3, v[11:12], off
	v_add_co_u32 v11, s0, s40, v9
	s_delay_alu instid0(VALU_DEP_1) | instskip(SKIP_2) | instid1(VALU_DEP_1)
	v_add_co_ci_u32_e64 v12, s0, s41, v10, s0
	global_load_b32 v15, v[13:14], off
	v_add_co_u32 v13, s0, s42, v9
	v_add_co_ci_u32_e64 v14, s0, s43, v10, s0
	global_load_b32 v16, v[11:12], off
	v_add_co_u32 v11, s0, s24, v9
	s_delay_alu instid0(VALU_DEP_1) | instskip(SKIP_2) | instid1(VALU_DEP_1)
	v_add_co_ci_u32_e64 v12, s0, s25, v10, s0
	global_load_b32 v17, v[13:14], off
	v_add_co_u32 v13, s0, s26, v9
	v_add_co_ci_u32_e64 v14, s0, s27, v10, s0
	global_load_b32 v11, v[11:12], off
	v_add_co_u32 v9, s0, s28, v9
	s_delay_alu instid0(VALU_DEP_1)
	v_add_co_ci_u32_e64 v10, s0, s29, v10, s0
	global_load_b32 v12, v[13:14], off
	global_load_b32 v13, v[9:10], off
	s_waitcnt vmcnt(6)
	v_mul_f32_e32 v1, v1, v3
	s_waitcnt vmcnt(5)
	s_delay_alu instid0(VALU_DEP_1) | instskip(SKIP_1) | instid1(VALU_DEP_1)
	v_mul_f32_e32 v1, v1, v15
	s_waitcnt vmcnt(4)
	v_mul_f32_e32 v1, v1, v16
	s_waitcnt vmcnt(3)
	s_delay_alu instid0(VALU_DEP_1) | instskip(SKIP_2) | instid1(VALU_DEP_2)
	v_mul_f32_e32 v3, v1, v17
	v_ashrrev_i32_e32 v1, 31, v0
	s_waitcnt vmcnt(2)
	v_mul_f32_e32 v3, v3, v11
	s_delay_alu instid0(VALU_DEP_2) | instskip(SKIP_2) | instid1(VALU_DEP_3)
	v_lshlrev_b64 v[9:10], 2, v[0:1]
	v_add_nc_u32_e32 v0, s2, v0
	s_waitcnt vmcnt(1)
	v_mul_f32_e32 v1, v3, v12
	s_delay_alu instid0(VALU_DEP_2) | instskip(NEXT) | instid1(VALU_DEP_4)
	v_cmp_le_i32_e64 s0, s16, v0
	v_add_co_u32 v9, s1, v6, v9
	s_delay_alu instid0(VALU_DEP_1)
	v_add_co_ci_u32_e64 v10, s1, v7, v10, s1
	s_waitcnt vmcnt(0)
	v_mul_f32_e32 v1, v1, v13
	s_or_b32 s3, s0, s3
	global_store_b32 v[9:10], v1, off
	s_and_not1_b32 exec_lo, exec_lo, s3
	s_cbranch_execz .LBB137_6
.LBB137_4:                              ; =>This Inner Loop Header: Depth=1
	v_mov_b32_e32 v1, 0
	s_and_saveexec_b32 s1, vcc_lo
	s_cbranch_execz .LBB137_3
; %bb.5:                                ;   in Loop: Header=BB137_4 Depth=1
	v_ashrrev_i32_e32 v3, 31, v2
	s_delay_alu instid0(VALU_DEP_1) | instskip(NEXT) | instid1(VALU_DEP_1)
	v_lshlrev_b64 v[9:10], 2, v[2:3]
	v_add_co_u32 v9, s0, v4, v9
	s_delay_alu instid0(VALU_DEP_1)
	v_add_co_ci_u32_e64 v10, s0, v5, v10, s0
	global_load_b32 v1, v[9:10], off
	s_branch .LBB137_3
.LBB137_6:
	s_nop 0
	s_sendmsg sendmsg(MSG_DEALLOC_VGPRS)
	s_endpgm
	.section	.rodata,"a",@progbits
	.p2align	6, 0x0
	.amdhsa_kernel _ZL11k_bin_bcastIXadL_ZL6op_mulffEEfffJPKfS1_S1_S1_S1_S1_S1_EEvPKT0_PKT1_PT2_iii15HIP_vector_typeIjLj3EESB_SB_SB_SB_iiiiiiiiiiiDpT3_
		.amdhsa_group_segment_fixed_size 0
		.amdhsa_private_segment_fixed_size 0
		.amdhsa_kernarg_size 456
		.amdhsa_user_sgpr_count 13
		.amdhsa_user_sgpr_dispatch_ptr 0
		.amdhsa_user_sgpr_queue_ptr 0
		.amdhsa_user_sgpr_kernarg_segment_ptr 1
		.amdhsa_user_sgpr_dispatch_id 0
		.amdhsa_user_sgpr_private_segment_size 0
		.amdhsa_wavefront_size32 1
		.amdhsa_uses_dynamic_stack 0
		.amdhsa_enable_private_segment 0
		.amdhsa_system_sgpr_workgroup_id_x 1
		.amdhsa_system_sgpr_workgroup_id_y 1
		.amdhsa_system_sgpr_workgroup_id_z 1
		.amdhsa_system_sgpr_workgroup_info 0
		.amdhsa_system_vgpr_workitem_id 2
		.amdhsa_next_free_vgpr 18
		.amdhsa_next_free_sgpr 44
		.amdhsa_reserve_vcc 1
		.amdhsa_float_round_mode_32 0
		.amdhsa_float_round_mode_16_64 0
		.amdhsa_float_denorm_mode_32 3
		.amdhsa_float_denorm_mode_16_64 3
		.amdhsa_dx10_clamp 1
		.amdhsa_ieee_mode 1
		.amdhsa_fp16_overflow 0
		.amdhsa_workgroup_processor_mode 1
		.amdhsa_memory_ordered 1
		.amdhsa_forward_progress 0
		.amdhsa_shared_vgpr_count 0
		.amdhsa_exception_fp_ieee_invalid_op 0
		.amdhsa_exception_fp_denorm_src 0
		.amdhsa_exception_fp_ieee_div_zero 0
		.amdhsa_exception_fp_ieee_overflow 0
		.amdhsa_exception_fp_ieee_underflow 0
		.amdhsa_exception_fp_ieee_inexact 0
		.amdhsa_exception_int_div_zero 0
	.end_amdhsa_kernel
	.section	.text._ZL11k_bin_bcastIXadL_ZL6op_mulffEEfffJPKfS1_S1_S1_S1_S1_S1_EEvPKT0_PKT1_PT2_iii15HIP_vector_typeIjLj3EESB_SB_SB_SB_iiiiiiiiiiiDpT3_,"axG",@progbits,_ZL11k_bin_bcastIXadL_ZL6op_mulffEEfffJPKfS1_S1_S1_S1_S1_S1_EEvPKT0_PKT1_PT2_iii15HIP_vector_typeIjLj3EESB_SB_SB_SB_iiiiiiiiiiiDpT3_,comdat
.Lfunc_end137:
	.size	_ZL11k_bin_bcastIXadL_ZL6op_mulffEEfffJPKfS1_S1_S1_S1_S1_S1_EEvPKT0_PKT1_PT2_iii15HIP_vector_typeIjLj3EESB_SB_SB_SB_iiiiiiiiiiiDpT3_, .Lfunc_end137-_ZL11k_bin_bcastIXadL_ZL6op_mulffEEfffJPKfS1_S1_S1_S1_S1_S1_EEvPKT0_PKT1_PT2_iii15HIP_vector_typeIjLj3EESB_SB_SB_SB_iiiiiiiiiiiDpT3_
                                        ; -- End function
	.section	.AMDGPU.csdata,"",@progbits
; Kernel info:
; codeLenInByte = 1092
; NumSgprs: 46
; NumVgprs: 18
; ScratchSize: 0
; MemoryBound: 0
; FloatMode: 240
; IeeeMode: 1
; LDSByteSize: 0 bytes/workgroup (compile time only)
; SGPRBlocks: 5
; VGPRBlocks: 2
; NumSGPRsForWavesPerEU: 46
; NumVGPRsForWavesPerEU: 18
; Occupancy: 16
; WaveLimiterHint : 1
; COMPUTE_PGM_RSRC2:SCRATCH_EN: 0
; COMPUTE_PGM_RSRC2:USER_SGPR: 13
; COMPUTE_PGM_RSRC2:TRAP_HANDLER: 0
; COMPUTE_PGM_RSRC2:TGID_X_EN: 1
; COMPUTE_PGM_RSRC2:TGID_Y_EN: 1
; COMPUTE_PGM_RSRC2:TGID_Z_EN: 1
; COMPUTE_PGM_RSRC2:TIDIG_COMP_CNT: 2
	.section	.text._ZL19k_bin_bcast_unravelIXadL_ZL6op_mulffEE6__halfS0_S0_JPKS0_S2_S2_S2_S2_S2_S2_EEvPKT0_PKT1_PT2_15HIP_vector_typeIjLj3EESC_SC_jSC_SC_SC_SC_SC_SC_iiiiiiiiiiiDpT3_,"axG",@progbits,_ZL19k_bin_bcast_unravelIXadL_ZL6op_mulffEE6__halfS0_S0_JPKS0_S2_S2_S2_S2_S2_S2_EEvPKT0_PKT1_PT2_15HIP_vector_typeIjLj3EESC_SC_jSC_SC_SC_SC_SC_SC_iiiiiiiiiiiDpT3_,comdat
	.globl	_ZL19k_bin_bcast_unravelIXadL_ZL6op_mulffEE6__halfS0_S0_JPKS0_S2_S2_S2_S2_S2_S2_EEvPKT0_PKT1_PT2_15HIP_vector_typeIjLj3EESC_SC_jSC_SC_SC_SC_SC_SC_iiiiiiiiiiiDpT3_ ; -- Begin function _ZL19k_bin_bcast_unravelIXadL_ZL6op_mulffEE6__halfS0_S0_JPKS0_S2_S2_S2_S2_S2_S2_EEvPKT0_PKT1_PT2_15HIP_vector_typeIjLj3EESC_SC_jSC_SC_SC_SC_SC_SC_iiiiiiiiiiiDpT3_
	.p2align	8
	.type	_ZL19k_bin_bcast_unravelIXadL_ZL6op_mulffEE6__halfS0_S0_JPKS0_S2_S2_S2_S2_S2_S2_EEvPKT0_PKT1_PT2_15HIP_vector_typeIjLj3EESC_SC_jSC_SC_SC_SC_SC_SC_iiiiiiiiiiiDpT3_,@function
_ZL19k_bin_bcast_unravelIXadL_ZL6op_mulffEE6__halfS0_S0_JPKS0_S2_S2_S2_S2_S2_S2_EEvPKT0_PKT1_PT2_15HIP_vector_typeIjLj3EESC_SC_jSC_SC_SC_SC_SC_SC_iiiiiiiiiiiDpT3_: ; @_ZL19k_bin_bcast_unravelIXadL_ZL6op_mulffEE6__halfS0_S0_JPKS0_S2_S2_S2_S2_S2_S2_EEvPKT0_PKT1_PT2_15HIP_vector_typeIjLj3EESC_SC_jSC_SC_SC_SC_SC_SC_iiiiiiiiiiiDpT3_
; %bb.0:
	s_clause 0x1
	s_load_b32 s2, s[0:1], 0xfc
	s_load_b256 s[4:11], s[0:1], 0x38
	s_waitcnt lgkmcnt(0)
	s_and_b32 s2, s2, 0xffff
	s_delay_alu instid0(SALU_CYCLE_1) | instskip(SKIP_3) | instid1(VALU_DEP_1)
	v_mad_u64_u32 v[2:3], null, s15, s2, v[0:1]
	s_clause 0x1
	s_load_b128 s[12:15], s[0:1], 0x18
	s_load_b32 s2, s[0:1], 0x2c
	v_mul_hi_u32 v0, v2, s6
	s_delay_alu instid0(VALU_DEP_1) | instskip(NEXT) | instid1(VALU_DEP_1)
	v_add_nc_u32_e32 v0, v2, v0
	v_lshrrev_b32_e32 v1, s7, v0
	s_delay_alu instid0(VALU_DEP_1) | instskip(NEXT) | instid1(VALU_DEP_1)
	v_mul_lo_u32 v0, v1, s8
	v_sub_nc_u32_e32 v0, v2, v0
	s_delay_alu instid0(VALU_DEP_1) | instskip(NEXT) | instid1(VALU_DEP_1)
	v_mul_hi_u32 v2, v0, s9
	v_add_nc_u32_e32 v2, v0, v2
	s_delay_alu instid0(VALU_DEP_1) | instskip(NEXT) | instid1(VALU_DEP_1)
	v_lshrrev_b32_e32 v2, s10, v2
	v_mul_lo_u32 v3, v2, s11
	v_cmp_gt_u32_e64 s3, s4, v2
	v_cmp_gt_u32_e64 s4, s5, v1
	s_delay_alu instid0(VALU_DEP_3) | instskip(SKIP_1) | instid1(VALU_DEP_1)
	v_sub_nc_u32_e32 v0, v0, v3
	s_waitcnt lgkmcnt(0)
	v_mul_hi_u32 v3, v0, s12
	s_delay_alu instid0(VALU_DEP_1) | instskip(NEXT) | instid1(VALU_DEP_1)
	v_add_nc_u32_e32 v3, v0, v3
	v_lshrrev_b32_e32 v3, s13, v3
	s_delay_alu instid0(VALU_DEP_1) | instskip(SKIP_1) | instid1(VALU_DEP_2)
	v_mul_lo_u32 v4, v3, s14
	v_cmp_gt_u32_e64 s2, s2, v3
	v_sub_nc_u32_e32 v0, v0, v4
	s_delay_alu instid0(VALU_DEP_1) | instskip(NEXT) | instid1(VALU_DEP_3)
	v_cmp_gt_u32_e32 vcc_lo, s14, v0
	s_and_b32 s2, vcc_lo, s2
	s_delay_alu instid0(SALU_CYCLE_1) | instskip(NEXT) | instid1(SALU_CYCLE_1)
	s_and_b32 s2, s2, s3
	s_and_b32 s2, s4, s2
	s_delay_alu instid0(SALU_CYCLE_1)
	s_and_saveexec_b32 s3, s2
	s_cbranch_execz .LBB138_5
; %bb.1:
	s_clause 0x4
	s_load_b64 s[2:3], s[0:1], 0x0
	s_load_b128 s[20:23], s[0:1], 0xa8
	s_load_b256 s[4:11], s[0:1], 0x88
	s_load_b128 s[24:27], s[0:1], 0x78
	s_load_b256 s[12:19], s[0:1], 0x58
	s_waitcnt lgkmcnt(0)
	s_cmp_eq_u64 s[2:3], 0
	s_cbranch_scc1 .LBB138_3
; %bb.2:
	v_mul_lo_u32 v4, v1, s10
	v_mul_lo_u32 v6, v2, s9
	;; [unrolled: 1-line block ×3, first 2 shown]
	v_mov_b32_e32 v5, 0
	s_delay_alu instid0(VALU_DEP_2) | instskip(NEXT) | instid1(VALU_DEP_1)
	v_add3_u32 v4, v6, v4, v7
	v_lshlrev_b64 v[6:7], 1, v[4:5]
	v_mul_lo_u32 v4, v0, s7
	s_delay_alu instid0(VALU_DEP_2) | instskip(NEXT) | instid1(VALU_DEP_3)
	v_add_co_u32 v6, vcc_lo, s2, v6
	v_add_co_ci_u32_e32 v7, vcc_lo, s3, v7, vcc_lo
	s_delay_alu instid0(VALU_DEP_3) | instskip(NEXT) | instid1(VALU_DEP_1)
	v_lshlrev_b64 v[4:5], 1, v[4:5]
	v_add_co_u32 v4, vcc_lo, v6, v4
	s_delay_alu instid0(VALU_DEP_2)
	v_add_co_ci_u32_e32 v5, vcc_lo, v7, v5, vcc_lo
	global_load_u16 v4, v[4:5], off
	s_waitcnt vmcnt(0)
	v_cvt_f32_f16_e32 v4, v4
	s_branch .LBB138_4
.LBB138_3:
	v_mov_b32_e32 v4, 0
.LBB138_4:
	v_mul_hi_u32 v5, s25, v1
	v_mul_hi_u32 v6, s18, v2
	;; [unrolled: 1-line block ×4, first 2 shown]
	s_delay_alu instid0(VALU_DEP_4) | instskip(NEXT) | instid1(VALU_DEP_4)
	v_add_nc_u32_e32 v5, v1, v5
	v_add_nc_u32_e32 v6, v2, v6
	s_delay_alu instid0(VALU_DEP_4) | instskip(NEXT) | instid1(VALU_DEP_4)
	v_add_nc_u32_e32 v7, v3, v7
	v_add_nc_u32_e32 v8, v0, v8
	s_delay_alu instid0(VALU_DEP_4) | instskip(NEXT) | instid1(VALU_DEP_4)
	v_lshrrev_b32_e32 v5, s26, v5
	v_lshrrev_b32_e32 v6, s19, v6
	s_delay_alu instid0(VALU_DEP_4) | instskip(NEXT) | instid1(VALU_DEP_4)
	v_lshrrev_b32_e32 v7, s16, v7
	v_lshrrev_b32_e32 v8, s13, v8
	s_delay_alu instid0(VALU_DEP_4) | instskip(NEXT) | instid1(VALU_DEP_4)
	v_mul_lo_u32 v5, v5, s27
	v_mul_lo_u32 v6, v6, s24
	s_delay_alu instid0(VALU_DEP_4) | instskip(NEXT) | instid1(VALU_DEP_4)
	v_mul_lo_u32 v7, v7, s17
	v_mul_lo_u32 v8, v8, s14
	s_clause 0x1
	s_load_b64 s[2:3], s[0:1], 0xe8
	s_load_b128 s[16:19], s[0:1], 0xd8
	s_delay_alu instid0(VALU_DEP_4) | instskip(NEXT) | instid1(VALU_DEP_4)
	v_sub_nc_u32_e32 v5, v1, v5
	v_sub_nc_u32_e32 v6, v2, v6
	s_delay_alu instid0(VALU_DEP_4) | instskip(NEXT) | instid1(VALU_DEP_4)
	v_sub_nc_u32_e32 v7, v3, v7
	v_sub_nc_u32_e32 v8, v0, v8
	v_mul_lo_u32 v1, v1, s6
	v_mul_lo_u32 v5, v5, s22
	;; [unrolled: 1-line block ×5, first 2 shown]
	s_clause 0x1
	s_load_b256 s[8:15], s[0:1], 0xb8
	s_load_b64 s[0:1], s[0:1], 0x10
	v_mul_lo_u32 v2, v2, s5
	s_delay_alu instid0(VALU_DEP_3) | instskip(NEXT) | instid1(VALU_DEP_3)
	v_add3_u32 v5, v6, v5, v7
	v_ashrrev_i32_e32 v6, 31, v8
	s_delay_alu instid0(VALU_DEP_2) | instskip(SKIP_1) | instid1(VALU_DEP_2)
	v_ashrrev_i32_e32 v7, 31, v5
	v_add_co_u32 v5, vcc_lo, v8, v5
	v_add_co_ci_u32_e32 v6, vcc_lo, v6, v7, vcc_lo
	s_delay_alu instid0(VALU_DEP_1) | instskip(SKIP_1) | instid1(VALU_DEP_1)
	v_lshlrev_b64 v[5:6], 1, v[5:6]
	s_waitcnt lgkmcnt(0)
	v_add_co_u32 v7, vcc_lo, s8, v5
	s_delay_alu instid0(VALU_DEP_2)
	v_add_co_ci_u32_e32 v8, vcc_lo, s9, v6, vcc_lo
	v_add_co_u32 v9, vcc_lo, s10, v5
	v_add_co_ci_u32_e32 v10, vcc_lo, s11, v6, vcc_lo
	global_load_u16 v11, v[7:8], off
	v_add_co_u32 v7, vcc_lo, s12, v5
	global_load_u16 v12, v[9:10], off
	v_add_co_ci_u32_e32 v8, vcc_lo, s13, v6, vcc_lo
	v_add_co_u32 v9, vcc_lo, s14, v5
	v_add_co_ci_u32_e32 v10, vcc_lo, s15, v6, vcc_lo
	global_load_u16 v13, v[7:8], off
	v_add_co_u32 v7, vcc_lo, s16, v5
	v_add_co_ci_u32_e32 v8, vcc_lo, s17, v6, vcc_lo
	global_load_u16 v14, v[9:10], off
	;; [unrolled: 3-line block ×3, first 2 shown]
	global_load_u16 v8, v[9:10], off
	v_add_co_u32 v5, vcc_lo, s2, v5
	v_add_co_ci_u32_e32 v6, vcc_lo, s3, v6, vcc_lo
	global_load_u16 v5, v[5:6], off
	s_waitcnt vmcnt(6)
	v_cvt_f32_f16_e32 v6, v11
	s_waitcnt vmcnt(5)
	v_cvt_f32_f16_e32 v9, v12
	s_delay_alu instid0(VALU_DEP_2) | instskip(SKIP_2) | instid1(VALU_DEP_2)
	v_mul_f32_e32 v4, v4, v6
	s_waitcnt vmcnt(4)
	v_cvt_f32_f16_e32 v6, v13
	v_mul_f32_e32 v4, v4, v9
	v_mul_lo_u32 v9, v3, s4
	v_mov_b32_e32 v3, 0
	s_waitcnt vmcnt(3)
	v_cvt_f32_f16_e32 v10, v14
	v_mul_f32_e32 v4, v4, v6
	s_delay_alu instid0(VALU_DEP_4)
	v_add3_u32 v2, v2, v1, v9
	v_mov_b32_e32 v1, v3
	s_waitcnt vmcnt(2)
	v_cvt_f32_f16_e32 v6, v7
	v_mul_f32_e32 v4, v4, v10
	s_waitcnt vmcnt(1)
	v_cvt_f32_f16_e32 v7, v8
	v_lshlrev_b64 v[2:3], 1, v[2:3]
	v_lshlrev_b64 v[0:1], 1, v[0:1]
	v_mul_f32_e32 v4, v4, v6
	s_delay_alu instid0(VALU_DEP_3) | instskip(NEXT) | instid1(VALU_DEP_2)
	v_add_co_u32 v2, vcc_lo, s0, v2
	v_mul_f32_e32 v4, v4, v7
	v_add_co_ci_u32_e32 v3, vcc_lo, s1, v3, vcc_lo
	s_delay_alu instid0(VALU_DEP_3) | instskip(SKIP_1) | instid1(VALU_DEP_3)
	v_add_co_u32 v0, vcc_lo, v2, v0
	s_waitcnt vmcnt(0)
	v_fma_mixlo_f16 v4, v4, v5, 0 op_sel_hi:[0,1,0]
	s_delay_alu instid0(VALU_DEP_3)
	v_add_co_ci_u32_e32 v1, vcc_lo, v3, v1, vcc_lo
	global_store_b16 v[0:1], v4, off
.LBB138_5:
	s_nop 0
	s_sendmsg sendmsg(MSG_DEALLOC_VGPRS)
	s_endpgm
	.section	.rodata,"a",@progbits
	.p2align	6, 0x0
	.amdhsa_kernel _ZL19k_bin_bcast_unravelIXadL_ZL6op_mulffEE6__halfS0_S0_JPKS0_S2_S2_S2_S2_S2_S2_EEvPKT0_PKT1_PT2_15HIP_vector_typeIjLj3EESC_SC_jSC_SC_SC_SC_SC_SC_iiiiiiiiiiiDpT3_
		.amdhsa_group_segment_fixed_size 0
		.amdhsa_private_segment_fixed_size 0
		.amdhsa_kernarg_size 496
		.amdhsa_user_sgpr_count 15
		.amdhsa_user_sgpr_dispatch_ptr 0
		.amdhsa_user_sgpr_queue_ptr 0
		.amdhsa_user_sgpr_kernarg_segment_ptr 1
		.amdhsa_user_sgpr_dispatch_id 0
		.amdhsa_user_sgpr_private_segment_size 0
		.amdhsa_wavefront_size32 1
		.amdhsa_uses_dynamic_stack 0
		.amdhsa_enable_private_segment 0
		.amdhsa_system_sgpr_workgroup_id_x 1
		.amdhsa_system_sgpr_workgroup_id_y 0
		.amdhsa_system_sgpr_workgroup_id_z 0
		.amdhsa_system_sgpr_workgroup_info 0
		.amdhsa_system_vgpr_workitem_id 0
		.amdhsa_next_free_vgpr 15
		.amdhsa_next_free_sgpr 28
		.amdhsa_reserve_vcc 1
		.amdhsa_float_round_mode_32 0
		.amdhsa_float_round_mode_16_64 0
		.amdhsa_float_denorm_mode_32 3
		.amdhsa_float_denorm_mode_16_64 3
		.amdhsa_dx10_clamp 1
		.amdhsa_ieee_mode 1
		.amdhsa_fp16_overflow 0
		.amdhsa_workgroup_processor_mode 1
		.amdhsa_memory_ordered 1
		.amdhsa_forward_progress 0
		.amdhsa_shared_vgpr_count 0
		.amdhsa_exception_fp_ieee_invalid_op 0
		.amdhsa_exception_fp_denorm_src 0
		.amdhsa_exception_fp_ieee_div_zero 0
		.amdhsa_exception_fp_ieee_overflow 0
		.amdhsa_exception_fp_ieee_underflow 0
		.amdhsa_exception_fp_ieee_inexact 0
		.amdhsa_exception_int_div_zero 0
	.end_amdhsa_kernel
	.section	.text._ZL19k_bin_bcast_unravelIXadL_ZL6op_mulffEE6__halfS0_S0_JPKS0_S2_S2_S2_S2_S2_S2_EEvPKT0_PKT1_PT2_15HIP_vector_typeIjLj3EESC_SC_jSC_SC_SC_SC_SC_SC_iiiiiiiiiiiDpT3_,"axG",@progbits,_ZL19k_bin_bcast_unravelIXadL_ZL6op_mulffEE6__halfS0_S0_JPKS0_S2_S2_S2_S2_S2_S2_EEvPKT0_PKT1_PT2_15HIP_vector_typeIjLj3EESC_SC_jSC_SC_SC_SC_SC_SC_iiiiiiiiiiiDpT3_,comdat
.Lfunc_end138:
	.size	_ZL19k_bin_bcast_unravelIXadL_ZL6op_mulffEE6__halfS0_S0_JPKS0_S2_S2_S2_S2_S2_S2_EEvPKT0_PKT1_PT2_15HIP_vector_typeIjLj3EESC_SC_jSC_SC_SC_SC_SC_SC_iiiiiiiiiiiDpT3_, .Lfunc_end138-_ZL19k_bin_bcast_unravelIXadL_ZL6op_mulffEE6__halfS0_S0_JPKS0_S2_S2_S2_S2_S2_S2_EEvPKT0_PKT1_PT2_15HIP_vector_typeIjLj3EESC_SC_jSC_SC_SC_SC_SC_SC_iiiiiiiiiiiDpT3_
                                        ; -- End function
	.section	.AMDGPU.csdata,"",@progbits
; Kernel info:
; codeLenInByte = 1036
; NumSgprs: 30
; NumVgprs: 15
; ScratchSize: 0
; MemoryBound: 0
; FloatMode: 240
; IeeeMode: 1
; LDSByteSize: 0 bytes/workgroup (compile time only)
; SGPRBlocks: 3
; VGPRBlocks: 1
; NumSGPRsForWavesPerEU: 30
; NumVGPRsForWavesPerEU: 15
; Occupancy: 16
; WaveLimiterHint : 1
; COMPUTE_PGM_RSRC2:SCRATCH_EN: 0
; COMPUTE_PGM_RSRC2:USER_SGPR: 15
; COMPUTE_PGM_RSRC2:TRAP_HANDLER: 0
; COMPUTE_PGM_RSRC2:TGID_X_EN: 1
; COMPUTE_PGM_RSRC2:TGID_Y_EN: 0
; COMPUTE_PGM_RSRC2:TGID_Z_EN: 0
; COMPUTE_PGM_RSRC2:TIDIG_COMP_CNT: 0
	.section	.text._ZL11k_bin_bcastIXadL_ZL6op_mulffEE6__halfS0_S0_JPKS0_S2_S2_S2_S2_S2_S2_EEvPKT0_PKT1_PT2_iii15HIP_vector_typeIjLj3EESC_SC_SC_SC_iiiiiiiiiiiDpT3_,"axG",@progbits,_ZL11k_bin_bcastIXadL_ZL6op_mulffEE6__halfS0_S0_JPKS0_S2_S2_S2_S2_S2_S2_EEvPKT0_PKT1_PT2_iii15HIP_vector_typeIjLj3EESC_SC_SC_SC_iiiiiiiiiiiDpT3_,comdat
	.globl	_ZL11k_bin_bcastIXadL_ZL6op_mulffEE6__halfS0_S0_JPKS0_S2_S2_S2_S2_S2_S2_EEvPKT0_PKT1_PT2_iii15HIP_vector_typeIjLj3EESC_SC_SC_SC_iiiiiiiiiiiDpT3_ ; -- Begin function _ZL11k_bin_bcastIXadL_ZL6op_mulffEE6__halfS0_S0_JPKS0_S2_S2_S2_S2_S2_S2_EEvPKT0_PKT1_PT2_iii15HIP_vector_typeIjLj3EESC_SC_SC_SC_iiiiiiiiiiiDpT3_
	.p2align	8
	.type	_ZL11k_bin_bcastIXadL_ZL6op_mulffEE6__halfS0_S0_JPKS0_S2_S2_S2_S2_S2_S2_EEvPKT0_PKT1_PT2_iii15HIP_vector_typeIjLj3EESC_SC_SC_SC_iiiiiiiiiiiDpT3_,@function
_ZL11k_bin_bcastIXadL_ZL6op_mulffEE6__halfS0_S0_JPKS0_S2_S2_S2_S2_S2_S2_EEvPKT0_PKT1_PT2_iii15HIP_vector_typeIjLj3EESC_SC_SC_SC_iiiiiiiiiiiDpT3_: ; @_ZL11k_bin_bcastIXadL_ZL6op_mulffEE6__halfS0_S0_JPKS0_S2_S2_S2_S2_S2_S2_EEvPKT0_PKT1_PT2_iii15HIP_vector_typeIjLj3EESC_SC_SC_SC_iiiiiiiiiiiDpT3_
; %bb.0:
	s_clause 0x1
	s_load_b64 s[2:3], s[0:1], 0xd4
	s_load_b256 s[16:23], s[0:1], 0x18
	v_bfe_u32 v1, v0, 20, 10
	s_add_u32 s24, s0, 0xc8
	s_addc_u32 s25, s1, 0
	s_waitcnt lgkmcnt(0)
	s_and_b32 s3, s3, 0xffff
	s_delay_alu instid0(SALU_CYCLE_1) | instskip(SKIP_3) | instid1(VALU_DEP_3)
	v_mad_u64_u32 v[4:5], null, s15, s3, v[1:2]
	v_and_b32_e32 v2, 0x3ff, v0
	v_bfe_u32 v5, v0, 10, 10
	s_lshr_b32 s3, s2, 16
	v_mul_hi_u32 v1, v4, s19
	s_delay_alu instid0(VALU_DEP_1) | instskip(NEXT) | instid1(VALU_DEP_1)
	v_add_nc_u32_e32 v1, v4, v1
	v_lshrrev_b32_e32 v3, s20, v1
	s_and_b32 s20, s2, 0xffff
	s_delay_alu instid0(VALU_DEP_1) | instskip(SKIP_1) | instid1(VALU_DEP_2)
	v_mul_lo_u32 v6, v3, s21
	v_mad_u64_u32 v[0:1], null, s13, s20, v[2:3]
	v_mad_u64_u32 v[1:2], null, s14, s3, v[5:6]
	v_sub_nc_u32_e32 v4, v4, v6
	s_delay_alu instid0(VALU_DEP_3) | instskip(SKIP_1) | instid1(VALU_DEP_3)
	v_cmp_gt_u32_e32 vcc_lo, s16, v0
	v_cmp_gt_u32_e64 s3, s18, v3
	v_cmp_gt_u32_e64 s4, s21, v4
	;; [unrolled: 1-line block ×3, first 2 shown]
	s_delay_alu instid0(VALU_DEP_1)
	s_and_b32 s2, vcc_lo, s2
	s_delay_alu instid0(VALU_DEP_3) | instid1(SALU_CYCLE_1)
	s_and_b32 s2, s2, s3
	s_delay_alu instid0(VALU_DEP_2) | instid1(SALU_CYCLE_1)
	s_and_b32 s2, s2, s4
	s_delay_alu instid0(SALU_CYCLE_1)
	s_and_saveexec_b32 s3, s2
	s_cbranch_execz .LBB139_6
; %bb.1:
	v_cmp_gt_i32_e32 vcc_lo, s16, v0
	s_and_b32 exec_lo, exec_lo, vcc_lo
	s_cbranch_execz .LBB139_6
; %bb.2:
	s_clause 0x2
	s_load_b256 s[36:43], s[0:1], 0x3c
	s_load_b256 s[4:11], s[0:1], 0x60
	s_load_b128 s[12:15], s[0:1], 0x80
	s_waitcnt lgkmcnt(0)
	s_load_b32 s15, s[24:25], 0x0
	s_clause 0x4
	s_load_b32 s17, s[0:1], 0x5c
	s_load_b64 s[18:19], s[0:1], 0x0
	s_load_b32 s21, s[0:1], 0x38
	s_load_b64 s[2:3], s[0:1], 0x10
	s_load_b256 s[24:31], s[0:1], 0xb0
	v_mul_hi_u32 v2, s36, v1
	v_mul_hi_u32 v5, s39, v3
	;; [unrolled: 1-line block ×3, first 2 shown]
	v_mul_lo_u32 v9, v4, s10
	v_mul_lo_u32 v10, v3, s9
	;; [unrolled: 1-line block ×3, first 2 shown]
	v_mov_b32_e32 v6, 0
	v_mul_lo_u32 v12, v4, s6
	v_add_nc_u32_e32 v2, v1, v2
	v_add_nc_u32_e32 v5, v3, v5
	s_delay_alu instid0(VALU_DEP_4) | instskip(SKIP_1) | instid1(VALU_DEP_4)
	v_dual_mov_b32 v8, v6 :: v_dual_add_nc_u32 v7, v4, v7
	v_mul_lo_u32 v13, v3, s5
	v_lshrrev_b32_e32 v2, s37, v2
	s_delay_alu instid0(VALU_DEP_4) | instskip(NEXT) | instid1(VALU_DEP_4)
	v_lshrrev_b32_e32 v15, s40, v5
	v_lshrrev_b32_e32 v16, s43, v7
	v_add3_u32 v5, v10, v11, v9
	v_mul_lo_u32 v14, v1, s4
	v_mul_lo_u32 v9, v2, s38
	;; [unrolled: 1-line block ×3, first 2 shown]
	s_waitcnt lgkmcnt(0)
	v_mul_lo_u32 v11, v16, s17
	v_lshlrev_b64 v[5:6], 1, v[5:6]
	s_load_b256 s[36:43], s[0:1], 0x90
	s_cmp_lg_u64 s[18:19], 0
	v_mul_lo_u32 v2, s7, v0
	v_add3_u32 v7, v13, v14, v12
	v_sub_nc_u32_e32 v1, v1, v9
	v_sub_nc_u32_e32 v3, v3, v10
	;; [unrolled: 1-line block ×3, first 2 shown]
	v_add_co_u32 v9, vcc_lo, s18, v5
	v_add_co_ci_u32_e32 v5, vcc_lo, s19, v6, vcc_lo
	v_lshlrev_b64 v[7:8], 1, v[7:8]
	s_delay_alu instid0(VALU_DEP_4)
	v_mul_lo_u32 v10, v4, s14
	v_mul_lo_u32 v3, v3, s13
	;; [unrolled: 1-line block ×3, first 2 shown]
	s_cselect_b32 vcc_lo, -1, 0
	s_sub_i32 s5, 0, s21
	v_cndmask_b32_e32 v5, 0, v5, vcc_lo
	v_cndmask_b32_e32 v4, 0, v9, vcc_lo
	v_add_co_u32 v6, vcc_lo, s2, v7
	v_add_co_ci_u32_e32 v7, vcc_lo, s3, v8, vcc_lo
	s_delay_alu instid0(VALU_DEP_3)
	v_cmp_ne_u64_e32 vcc_lo, 0, v[4:5]
	v_add3_u32 v8, v3, v10, v1
	s_mul_i32 s2, s15, s20
	s_mov_b32 s3, 0
	s_mul_i32 s4, s2, s7
	s_branch .LBB139_4
.LBB139_3:                              ;   in Loop: Header=BB139_4 Depth=1
	s_or_b32 exec_lo, exec_lo, s1
	v_mul_hi_u32 v3, s22, v0
	v_add_nc_u32_e32 v2, s4, v2
	s_delay_alu instid0(VALU_DEP_2) | instskip(NEXT) | instid1(VALU_DEP_1)
	v_add_nc_u32_e32 v3, v0, v3
	v_lshrrev_b32_e32 v3, s23, v3
	s_delay_alu instid0(VALU_DEP_1) | instskip(NEXT) | instid1(VALU_DEP_1)
	v_mad_u64_u32 v[9:10], null, s5, v3, v[0:1]
	v_mul_lo_u32 v3, v9, s11
	s_delay_alu instid0(VALU_DEP_1) | instskip(NEXT) | instid1(VALU_DEP_1)
	v_add_co_u32 v9, s0, v3, v8
	v_add_co_ci_u32_e64 v10, null, 0, 0, s0
	s_delay_alu instid0(VALU_DEP_1) | instskip(SKIP_1) | instid1(VALU_DEP_1)
	v_lshlrev_b64 v[9:10], 1, v[9:10]
	s_waitcnt lgkmcnt(0)
	v_add_co_u32 v11, s0, s36, v9
	s_delay_alu instid0(VALU_DEP_1) | instskip(SKIP_1) | instid1(VALU_DEP_1)
	v_add_co_ci_u32_e64 v12, s0, s37, v10, s0
	v_add_co_u32 v13, s0, s38, v9
	v_add_co_ci_u32_e64 v14, s0, s39, v10, s0
	global_load_u16 v3, v[11:12], off
	v_add_co_u32 v11, s0, s40, v9
	s_delay_alu instid0(VALU_DEP_1) | instskip(SKIP_2) | instid1(VALU_DEP_1)
	v_add_co_ci_u32_e64 v12, s0, s41, v10, s0
	global_load_u16 v15, v[13:14], off
	v_add_co_u32 v13, s0, s42, v9
	v_add_co_ci_u32_e64 v14, s0, s43, v10, s0
	global_load_u16 v16, v[11:12], off
	v_add_co_u32 v11, s0, s24, v9
	s_delay_alu instid0(VALU_DEP_1) | instskip(SKIP_2) | instid1(VALU_DEP_1)
	v_add_co_ci_u32_e64 v12, s0, s25, v10, s0
	global_load_u16 v17, v[13:14], off
	v_add_co_u32 v13, s0, s26, v9
	v_add_co_ci_u32_e64 v14, s0, s27, v10, s0
	global_load_u16 v11, v[11:12], off
	global_load_u16 v12, v[13:14], off
	v_add_co_u32 v9, s0, s28, v9
	s_delay_alu instid0(VALU_DEP_1)
	v_add_co_ci_u32_e64 v10, s0, s29, v10, s0
	global_load_u16 v13, v[9:10], off
	s_waitcnt vmcnt(6)
	v_cvt_f32_f16_e32 v3, v3
	s_waitcnt vmcnt(5)
	v_cvt_f32_f16_e32 v9, v15
	s_delay_alu instid0(VALU_DEP_2) | instskip(SKIP_2) | instid1(VALU_DEP_2)
	v_mul_f32_e32 v1, v1, v3
	s_waitcnt vmcnt(4)
	v_cvt_f32_f16_e32 v3, v16
	v_mul_f32_e32 v1, v1, v9
	s_waitcnt vmcnt(3)
	v_cvt_f32_f16_e32 v9, v17
	s_delay_alu instid0(VALU_DEP_2) | instskip(SKIP_2) | instid1(VALU_DEP_2)
	v_mul_f32_e32 v1, v1, v3
	s_waitcnt vmcnt(2)
	v_cvt_f32_f16_e32 v3, v11
	v_mul_f32_e32 v9, v1, v9
	v_ashrrev_i32_e32 v1, 31, v0
	s_waitcnt vmcnt(1)
	v_cvt_f32_f16_e32 v11, v12
	s_delay_alu instid0(VALU_DEP_3) | instskip(NEXT) | instid1(VALU_DEP_3)
	v_mul_f32_e32 v3, v9, v3
	v_lshlrev_b64 v[9:10], 1, v[0:1]
	s_delay_alu instid0(VALU_DEP_2) | instskip(NEXT) | instid1(VALU_DEP_1)
	v_dual_mul_f32 v1, v3, v11 :: v_dual_add_nc_u32 v0, s2, v0
	v_cmp_le_i32_e64 s0, s16, v0
	s_delay_alu instid0(VALU_DEP_3) | instskip(SKIP_1) | instid1(VALU_DEP_3)
	v_add_co_u32 v9, s1, v6, v9
	s_waitcnt vmcnt(0)
	v_fma_mixlo_f16 v1, v1, v13, 0 op_sel_hi:[0,1,0]
	v_add_co_ci_u32_e64 v10, s1, v7, v10, s1
	s_or_b32 s3, s0, s3
	global_store_b16 v[9:10], v1, off
	s_and_not1_b32 exec_lo, exec_lo, s3
	s_cbranch_execz .LBB139_6
.LBB139_4:                              ; =>This Inner Loop Header: Depth=1
	v_mov_b32_e32 v1, 0
	s_and_saveexec_b32 s1, vcc_lo
	s_cbranch_execz .LBB139_3
; %bb.5:                                ;   in Loop: Header=BB139_4 Depth=1
	v_ashrrev_i32_e32 v3, 31, v2
	s_delay_alu instid0(VALU_DEP_1) | instskip(NEXT) | instid1(VALU_DEP_1)
	v_lshlrev_b64 v[9:10], 1, v[2:3]
	v_add_co_u32 v9, s0, v4, v9
	s_delay_alu instid0(VALU_DEP_1)
	v_add_co_ci_u32_e64 v10, s0, v5, v10, s0
	global_load_u16 v1, v[9:10], off
	s_waitcnt vmcnt(0)
	v_cvt_f32_f16_e32 v1, v1
	s_branch .LBB139_3
.LBB139_6:
	s_nop 0
	s_sendmsg sendmsg(MSG_DEALLOC_VGPRS)
	s_endpgm
	.section	.rodata,"a",@progbits
	.p2align	6, 0x0
	.amdhsa_kernel _ZL11k_bin_bcastIXadL_ZL6op_mulffEE6__halfS0_S0_JPKS0_S2_S2_S2_S2_S2_S2_EEvPKT0_PKT1_PT2_iii15HIP_vector_typeIjLj3EESC_SC_SC_SC_iiiiiiiiiiiDpT3_
		.amdhsa_group_segment_fixed_size 0
		.amdhsa_private_segment_fixed_size 0
		.amdhsa_kernarg_size 456
		.amdhsa_user_sgpr_count 13
		.amdhsa_user_sgpr_dispatch_ptr 0
		.amdhsa_user_sgpr_queue_ptr 0
		.amdhsa_user_sgpr_kernarg_segment_ptr 1
		.amdhsa_user_sgpr_dispatch_id 0
		.amdhsa_user_sgpr_private_segment_size 0
		.amdhsa_wavefront_size32 1
		.amdhsa_uses_dynamic_stack 0
		.amdhsa_enable_private_segment 0
		.amdhsa_system_sgpr_workgroup_id_x 1
		.amdhsa_system_sgpr_workgroup_id_y 1
		.amdhsa_system_sgpr_workgroup_id_z 1
		.amdhsa_system_sgpr_workgroup_info 0
		.amdhsa_system_vgpr_workitem_id 2
		.amdhsa_next_free_vgpr 18
		.amdhsa_next_free_sgpr 44
		.amdhsa_reserve_vcc 1
		.amdhsa_float_round_mode_32 0
		.amdhsa_float_round_mode_16_64 0
		.amdhsa_float_denorm_mode_32 3
		.amdhsa_float_denorm_mode_16_64 3
		.amdhsa_dx10_clamp 1
		.amdhsa_ieee_mode 1
		.amdhsa_fp16_overflow 0
		.amdhsa_workgroup_processor_mode 1
		.amdhsa_memory_ordered 1
		.amdhsa_forward_progress 0
		.amdhsa_shared_vgpr_count 0
		.amdhsa_exception_fp_ieee_invalid_op 0
		.amdhsa_exception_fp_denorm_src 0
		.amdhsa_exception_fp_ieee_div_zero 0
		.amdhsa_exception_fp_ieee_overflow 0
		.amdhsa_exception_fp_ieee_underflow 0
		.amdhsa_exception_fp_ieee_inexact 0
		.amdhsa_exception_int_div_zero 0
	.end_amdhsa_kernel
	.section	.text._ZL11k_bin_bcastIXadL_ZL6op_mulffEE6__halfS0_S0_JPKS0_S2_S2_S2_S2_S2_S2_EEvPKT0_PKT1_PT2_iii15HIP_vector_typeIjLj3EESC_SC_SC_SC_iiiiiiiiiiiDpT3_,"axG",@progbits,_ZL11k_bin_bcastIXadL_ZL6op_mulffEE6__halfS0_S0_JPKS0_S2_S2_S2_S2_S2_S2_EEvPKT0_PKT1_PT2_iii15HIP_vector_typeIjLj3EESC_SC_SC_SC_iiiiiiiiiiiDpT3_,comdat
.Lfunc_end139:
	.size	_ZL11k_bin_bcastIXadL_ZL6op_mulffEE6__halfS0_S0_JPKS0_S2_S2_S2_S2_S2_S2_EEvPKT0_PKT1_PT2_iii15HIP_vector_typeIjLj3EESC_SC_SC_SC_iiiiiiiiiiiDpT3_, .Lfunc_end139-_ZL11k_bin_bcastIXadL_ZL6op_mulffEE6__halfS0_S0_JPKS0_S2_S2_S2_S2_S2_S2_EEvPKT0_PKT1_PT2_iii15HIP_vector_typeIjLj3EESC_SC_SC_SC_iiiiiiiiiiiDpT3_
                                        ; -- End function
	.section	.AMDGPU.csdata,"",@progbits
; Kernel info:
; codeLenInByte = 1124
; NumSgprs: 46
; NumVgprs: 18
; ScratchSize: 0
; MemoryBound: 0
; FloatMode: 240
; IeeeMode: 1
; LDSByteSize: 0 bytes/workgroup (compile time only)
; SGPRBlocks: 5
; VGPRBlocks: 2
; NumSGPRsForWavesPerEU: 46
; NumVGPRsForWavesPerEU: 18
; Occupancy: 16
; WaveLimiterHint : 1
; COMPUTE_PGM_RSRC2:SCRATCH_EN: 0
; COMPUTE_PGM_RSRC2:USER_SGPR: 13
; COMPUTE_PGM_RSRC2:TRAP_HANDLER: 0
; COMPUTE_PGM_RSRC2:TGID_X_EN: 1
; COMPUTE_PGM_RSRC2:TGID_Y_EN: 1
; COMPUTE_PGM_RSRC2:TGID_Z_EN: 1
; COMPUTE_PGM_RSRC2:TIDIG_COMP_CNT: 2
	.section	.text._ZL19k_bin_bcast_unravelIXadL_ZL6op_mulffEE6__halffS0_JPKfS2_S2_S2_S2_S2_S2_EEvPKT0_PKT1_PT2_15HIP_vector_typeIjLj3EESC_SC_jSC_SC_SC_SC_SC_SC_iiiiiiiiiiiDpT3_,"axG",@progbits,_ZL19k_bin_bcast_unravelIXadL_ZL6op_mulffEE6__halffS0_JPKfS2_S2_S2_S2_S2_S2_EEvPKT0_PKT1_PT2_15HIP_vector_typeIjLj3EESC_SC_jSC_SC_SC_SC_SC_SC_iiiiiiiiiiiDpT3_,comdat
	.globl	_ZL19k_bin_bcast_unravelIXadL_ZL6op_mulffEE6__halffS0_JPKfS2_S2_S2_S2_S2_S2_EEvPKT0_PKT1_PT2_15HIP_vector_typeIjLj3EESC_SC_jSC_SC_SC_SC_SC_SC_iiiiiiiiiiiDpT3_ ; -- Begin function _ZL19k_bin_bcast_unravelIXadL_ZL6op_mulffEE6__halffS0_JPKfS2_S2_S2_S2_S2_S2_EEvPKT0_PKT1_PT2_15HIP_vector_typeIjLj3EESC_SC_jSC_SC_SC_SC_SC_SC_iiiiiiiiiiiDpT3_
	.p2align	8
	.type	_ZL19k_bin_bcast_unravelIXadL_ZL6op_mulffEE6__halffS0_JPKfS2_S2_S2_S2_S2_S2_EEvPKT0_PKT1_PT2_15HIP_vector_typeIjLj3EESC_SC_jSC_SC_SC_SC_SC_SC_iiiiiiiiiiiDpT3_,@function
_ZL19k_bin_bcast_unravelIXadL_ZL6op_mulffEE6__halffS0_JPKfS2_S2_S2_S2_S2_S2_EEvPKT0_PKT1_PT2_15HIP_vector_typeIjLj3EESC_SC_jSC_SC_SC_SC_SC_SC_iiiiiiiiiiiDpT3_: ; @_ZL19k_bin_bcast_unravelIXadL_ZL6op_mulffEE6__halffS0_JPKfS2_S2_S2_S2_S2_S2_EEvPKT0_PKT1_PT2_15HIP_vector_typeIjLj3EESC_SC_jSC_SC_SC_SC_SC_SC_iiiiiiiiiiiDpT3_
; %bb.0:
	s_clause 0x1
	s_load_b32 s2, s[0:1], 0xfc
	s_load_b256 s[4:11], s[0:1], 0x38
	s_waitcnt lgkmcnt(0)
	s_and_b32 s2, s2, 0xffff
	s_delay_alu instid0(SALU_CYCLE_1) | instskip(SKIP_3) | instid1(VALU_DEP_1)
	v_mad_u64_u32 v[2:3], null, s15, s2, v[0:1]
	s_clause 0x1
	s_load_b128 s[12:15], s[0:1], 0x18
	s_load_b32 s2, s[0:1], 0x2c
	v_mul_hi_u32 v0, v2, s6
	s_delay_alu instid0(VALU_DEP_1) | instskip(NEXT) | instid1(VALU_DEP_1)
	v_add_nc_u32_e32 v0, v2, v0
	v_lshrrev_b32_e32 v1, s7, v0
	s_delay_alu instid0(VALU_DEP_1) | instskip(NEXT) | instid1(VALU_DEP_1)
	v_mul_lo_u32 v0, v1, s8
	v_sub_nc_u32_e32 v0, v2, v0
	s_delay_alu instid0(VALU_DEP_1) | instskip(NEXT) | instid1(VALU_DEP_1)
	v_mul_hi_u32 v2, v0, s9
	v_add_nc_u32_e32 v2, v0, v2
	s_delay_alu instid0(VALU_DEP_1) | instskip(NEXT) | instid1(VALU_DEP_1)
	v_lshrrev_b32_e32 v2, s10, v2
	v_mul_lo_u32 v3, v2, s11
	v_cmp_gt_u32_e64 s3, s4, v2
	v_cmp_gt_u32_e64 s4, s5, v1
	s_delay_alu instid0(VALU_DEP_3) | instskip(SKIP_1) | instid1(VALU_DEP_1)
	v_sub_nc_u32_e32 v0, v0, v3
	s_waitcnt lgkmcnt(0)
	v_mul_hi_u32 v3, v0, s12
	s_delay_alu instid0(VALU_DEP_1) | instskip(NEXT) | instid1(VALU_DEP_1)
	v_add_nc_u32_e32 v3, v0, v3
	v_lshrrev_b32_e32 v3, s13, v3
	s_delay_alu instid0(VALU_DEP_1) | instskip(SKIP_1) | instid1(VALU_DEP_2)
	v_mul_lo_u32 v4, v3, s14
	v_cmp_gt_u32_e64 s2, s2, v3
	v_sub_nc_u32_e32 v0, v0, v4
	s_delay_alu instid0(VALU_DEP_1) | instskip(NEXT) | instid1(VALU_DEP_3)
	v_cmp_gt_u32_e32 vcc_lo, s14, v0
	s_and_b32 s2, vcc_lo, s2
	s_delay_alu instid0(SALU_CYCLE_1) | instskip(NEXT) | instid1(SALU_CYCLE_1)
	s_and_b32 s2, s2, s3
	s_and_b32 s2, s4, s2
	s_delay_alu instid0(SALU_CYCLE_1)
	s_and_saveexec_b32 s3, s2
	s_cbranch_execz .LBB140_5
; %bb.1:
	s_clause 0x4
	s_load_b64 s[2:3], s[0:1], 0x0
	s_load_b128 s[20:23], s[0:1], 0xa8
	s_load_b256 s[4:11], s[0:1], 0x88
	s_load_b128 s[24:27], s[0:1], 0x78
	s_load_b256 s[12:19], s[0:1], 0x58
	s_waitcnt lgkmcnt(0)
	s_cmp_eq_u64 s[2:3], 0
	s_cbranch_scc1 .LBB140_3
; %bb.2:
	v_mul_lo_u32 v4, v1, s10
	v_mul_lo_u32 v6, v2, s9
	;; [unrolled: 1-line block ×3, first 2 shown]
	v_mov_b32_e32 v5, 0
	s_delay_alu instid0(VALU_DEP_2) | instskip(NEXT) | instid1(VALU_DEP_1)
	v_add3_u32 v4, v6, v4, v7
	v_lshlrev_b64 v[6:7], 1, v[4:5]
	v_mul_lo_u32 v4, v0, s7
	s_delay_alu instid0(VALU_DEP_2) | instskip(NEXT) | instid1(VALU_DEP_3)
	v_add_co_u32 v6, vcc_lo, s2, v6
	v_add_co_ci_u32_e32 v7, vcc_lo, s3, v7, vcc_lo
	s_delay_alu instid0(VALU_DEP_3) | instskip(NEXT) | instid1(VALU_DEP_1)
	v_lshlrev_b64 v[4:5], 1, v[4:5]
	v_add_co_u32 v4, vcc_lo, v6, v4
	s_delay_alu instid0(VALU_DEP_2)
	v_add_co_ci_u32_e32 v5, vcc_lo, v7, v5, vcc_lo
	global_load_u16 v4, v[4:5], off
	s_waitcnt vmcnt(0)
	v_cvt_f32_f16_e32 v4, v4
	s_branch .LBB140_4
.LBB140_3:
	v_mov_b32_e32 v4, 0
.LBB140_4:
	v_mul_hi_u32 v5, s25, v1
	v_mul_hi_u32 v6, s18, v2
	;; [unrolled: 1-line block ×4, first 2 shown]
	s_delay_alu instid0(VALU_DEP_4) | instskip(NEXT) | instid1(VALU_DEP_4)
	v_add_nc_u32_e32 v5, v1, v5
	v_add_nc_u32_e32 v6, v2, v6
	s_delay_alu instid0(VALU_DEP_4) | instskip(NEXT) | instid1(VALU_DEP_4)
	v_add_nc_u32_e32 v7, v3, v7
	v_add_nc_u32_e32 v8, v0, v8
	s_delay_alu instid0(VALU_DEP_4) | instskip(NEXT) | instid1(VALU_DEP_4)
	v_lshrrev_b32_e32 v5, s26, v5
	v_lshrrev_b32_e32 v6, s19, v6
	s_delay_alu instid0(VALU_DEP_4) | instskip(NEXT) | instid1(VALU_DEP_4)
	v_lshrrev_b32_e32 v7, s16, v7
	v_lshrrev_b32_e32 v8, s13, v8
	s_delay_alu instid0(VALU_DEP_4) | instskip(NEXT) | instid1(VALU_DEP_4)
	v_mul_lo_u32 v5, v5, s27
	v_mul_lo_u32 v6, v6, s24
	s_delay_alu instid0(VALU_DEP_4) | instskip(NEXT) | instid1(VALU_DEP_4)
	v_mul_lo_u32 v7, v7, s17
	v_mul_lo_u32 v8, v8, s14
	s_clause 0x1
	s_load_b64 s[2:3], s[0:1], 0xe8
	s_load_b128 s[16:19], s[0:1], 0xd8
	s_delay_alu instid0(VALU_DEP_4) | instskip(NEXT) | instid1(VALU_DEP_4)
	v_sub_nc_u32_e32 v5, v1, v5
	v_sub_nc_u32_e32 v6, v2, v6
	s_delay_alu instid0(VALU_DEP_4) | instskip(NEXT) | instid1(VALU_DEP_4)
	v_sub_nc_u32_e32 v7, v3, v7
	v_sub_nc_u32_e32 v8, v0, v8
	v_mul_lo_u32 v1, v1, s6
	v_mul_lo_u32 v5, v5, s22
	;; [unrolled: 1-line block ×5, first 2 shown]
	s_clause 0x1
	s_load_b256 s[8:15], s[0:1], 0xb8
	s_load_b64 s[0:1], s[0:1], 0x10
	v_mul_lo_u32 v2, v2, s5
	s_delay_alu instid0(VALU_DEP_3) | instskip(NEXT) | instid1(VALU_DEP_3)
	v_add3_u32 v5, v6, v5, v7
	v_ashrrev_i32_e32 v6, 31, v8
	s_delay_alu instid0(VALU_DEP_2) | instskip(SKIP_1) | instid1(VALU_DEP_2)
	v_ashrrev_i32_e32 v7, 31, v5
	v_add_co_u32 v5, vcc_lo, v8, v5
	v_add_co_ci_u32_e32 v6, vcc_lo, v6, v7, vcc_lo
	s_delay_alu instid0(VALU_DEP_1) | instskip(SKIP_1) | instid1(VALU_DEP_1)
	v_lshlrev_b64 v[5:6], 2, v[5:6]
	s_waitcnt lgkmcnt(0)
	v_add_co_u32 v7, vcc_lo, s8, v5
	s_delay_alu instid0(VALU_DEP_2)
	v_add_co_ci_u32_e32 v8, vcc_lo, s9, v6, vcc_lo
	v_add_co_u32 v9, vcc_lo, s10, v5
	v_add_co_ci_u32_e32 v10, vcc_lo, s11, v6, vcc_lo
	global_load_b32 v11, v[7:8], off
	v_add_co_u32 v7, vcc_lo, s12, v5
	v_add_co_ci_u32_e32 v8, vcc_lo, s13, v6, vcc_lo
	global_load_b32 v12, v[9:10], off
	v_add_co_u32 v9, vcc_lo, s14, v5
	v_add_co_ci_u32_e32 v10, vcc_lo, s15, v6, vcc_lo
	global_load_b32 v13, v[7:8], off
	v_add_co_u32 v7, vcc_lo, s16, v5
	v_add_co_ci_u32_e32 v8, vcc_lo, s17, v6, vcc_lo
	global_load_b32 v14, v[9:10], off
	v_add_co_u32 v9, vcc_lo, s18, v5
	v_add_co_ci_u32_e32 v10, vcc_lo, s19, v6, vcc_lo
	global_load_b32 v7, v[7:8], off
	v_add_co_u32 v5, vcc_lo, s2, v5
	v_add_co_ci_u32_e32 v6, vcc_lo, s3, v6, vcc_lo
	global_load_b32 v8, v[9:10], off
	global_load_b32 v5, v[5:6], off
	v_mul_lo_u32 v6, v3, s4
	v_mov_b32_e32 v3, 0
	s_delay_alu instid0(VALU_DEP_2) | instskip(NEXT) | instid1(VALU_DEP_2)
	v_add3_u32 v2, v2, v1, v6
	v_mov_b32_e32 v1, v3
	s_delay_alu instid0(VALU_DEP_2) | instskip(NEXT) | instid1(VALU_DEP_2)
	v_lshlrev_b64 v[2:3], 1, v[2:3]
	v_lshlrev_b64 v[0:1], 1, v[0:1]
	s_delay_alu instid0(VALU_DEP_2) | instskip(NEXT) | instid1(VALU_DEP_3)
	v_add_co_u32 v2, vcc_lo, s0, v2
	v_add_co_ci_u32_e32 v3, vcc_lo, s1, v3, vcc_lo
	s_delay_alu instid0(VALU_DEP_2) | instskip(NEXT) | instid1(VALU_DEP_2)
	v_add_co_u32 v0, vcc_lo, v2, v0
	v_add_co_ci_u32_e32 v1, vcc_lo, v3, v1, vcc_lo
	s_waitcnt vmcnt(6)
	v_mul_f32_e32 v4, v4, v11
	s_waitcnt vmcnt(5)
	s_delay_alu instid0(VALU_DEP_1) | instskip(SKIP_1) | instid1(VALU_DEP_1)
	v_mul_f32_e32 v4, v4, v12
	s_waitcnt vmcnt(4)
	v_mul_f32_e32 v4, v4, v13
	s_waitcnt vmcnt(3)
	s_delay_alu instid0(VALU_DEP_1) | instskip(SKIP_1) | instid1(VALU_DEP_1)
	v_mul_f32_e32 v4, v4, v14
	;; [unrolled: 5-line block ×3, first 2 shown]
	s_waitcnt vmcnt(0)
	v_fma_mixlo_f16 v4, v4, v5, 0
	global_store_b16 v[0:1], v4, off
.LBB140_5:
	s_nop 0
	s_sendmsg sendmsg(MSG_DEALLOC_VGPRS)
	s_endpgm
	.section	.rodata,"a",@progbits
	.p2align	6, 0x0
	.amdhsa_kernel _ZL19k_bin_bcast_unravelIXadL_ZL6op_mulffEE6__halffS0_JPKfS2_S2_S2_S2_S2_S2_EEvPKT0_PKT1_PT2_15HIP_vector_typeIjLj3EESC_SC_jSC_SC_SC_SC_SC_SC_iiiiiiiiiiiDpT3_
		.amdhsa_group_segment_fixed_size 0
		.amdhsa_private_segment_fixed_size 0
		.amdhsa_kernarg_size 496
		.amdhsa_user_sgpr_count 15
		.amdhsa_user_sgpr_dispatch_ptr 0
		.amdhsa_user_sgpr_queue_ptr 0
		.amdhsa_user_sgpr_kernarg_segment_ptr 1
		.amdhsa_user_sgpr_dispatch_id 0
		.amdhsa_user_sgpr_private_segment_size 0
		.amdhsa_wavefront_size32 1
		.amdhsa_uses_dynamic_stack 0
		.amdhsa_enable_private_segment 0
		.amdhsa_system_sgpr_workgroup_id_x 1
		.amdhsa_system_sgpr_workgroup_id_y 0
		.amdhsa_system_sgpr_workgroup_id_z 0
		.amdhsa_system_sgpr_workgroup_info 0
		.amdhsa_system_vgpr_workitem_id 0
		.amdhsa_next_free_vgpr 15
		.amdhsa_next_free_sgpr 28
		.amdhsa_reserve_vcc 1
		.amdhsa_float_round_mode_32 0
		.amdhsa_float_round_mode_16_64 0
		.amdhsa_float_denorm_mode_32 3
		.amdhsa_float_denorm_mode_16_64 3
		.amdhsa_dx10_clamp 1
		.amdhsa_ieee_mode 1
		.amdhsa_fp16_overflow 0
		.amdhsa_workgroup_processor_mode 1
		.amdhsa_memory_ordered 1
		.amdhsa_forward_progress 0
		.amdhsa_shared_vgpr_count 0
		.amdhsa_exception_fp_ieee_invalid_op 0
		.amdhsa_exception_fp_denorm_src 0
		.amdhsa_exception_fp_ieee_div_zero 0
		.amdhsa_exception_fp_ieee_overflow 0
		.amdhsa_exception_fp_ieee_underflow 0
		.amdhsa_exception_fp_ieee_inexact 0
		.amdhsa_exception_int_div_zero 0
	.end_amdhsa_kernel
	.section	.text._ZL19k_bin_bcast_unravelIXadL_ZL6op_mulffEE6__halffS0_JPKfS2_S2_S2_S2_S2_S2_EEvPKT0_PKT1_PT2_15HIP_vector_typeIjLj3EESC_SC_jSC_SC_SC_SC_SC_SC_iiiiiiiiiiiDpT3_,"axG",@progbits,_ZL19k_bin_bcast_unravelIXadL_ZL6op_mulffEE6__halffS0_JPKfS2_S2_S2_S2_S2_S2_EEvPKT0_PKT1_PT2_15HIP_vector_typeIjLj3EESC_SC_jSC_SC_SC_SC_SC_SC_iiiiiiiiiiiDpT3_,comdat
.Lfunc_end140:
	.size	_ZL19k_bin_bcast_unravelIXadL_ZL6op_mulffEE6__halffS0_JPKfS2_S2_S2_S2_S2_S2_EEvPKT0_PKT1_PT2_15HIP_vector_typeIjLj3EESC_SC_jSC_SC_SC_SC_SC_SC_iiiiiiiiiiiDpT3_, .Lfunc_end140-_ZL19k_bin_bcast_unravelIXadL_ZL6op_mulffEE6__halffS0_JPKfS2_S2_S2_S2_S2_S2_EEvPKT0_PKT1_PT2_15HIP_vector_typeIjLj3EESC_SC_jSC_SC_SC_SC_SC_SC_iiiiiiiiiiiDpT3_
                                        ; -- End function
	.section	.AMDGPU.csdata,"",@progbits
; Kernel info:
; codeLenInByte = 1020
; NumSgprs: 30
; NumVgprs: 15
; ScratchSize: 0
; MemoryBound: 0
; FloatMode: 240
; IeeeMode: 1
; LDSByteSize: 0 bytes/workgroup (compile time only)
; SGPRBlocks: 3
; VGPRBlocks: 1
; NumSGPRsForWavesPerEU: 30
; NumVGPRsForWavesPerEU: 15
; Occupancy: 16
; WaveLimiterHint : 1
; COMPUTE_PGM_RSRC2:SCRATCH_EN: 0
; COMPUTE_PGM_RSRC2:USER_SGPR: 15
; COMPUTE_PGM_RSRC2:TRAP_HANDLER: 0
; COMPUTE_PGM_RSRC2:TGID_X_EN: 1
; COMPUTE_PGM_RSRC2:TGID_Y_EN: 0
; COMPUTE_PGM_RSRC2:TGID_Z_EN: 0
; COMPUTE_PGM_RSRC2:TIDIG_COMP_CNT: 0
	.section	.text._ZL11k_bin_bcastIXadL_ZL6op_mulffEE6__halffS0_JPKfS2_S2_S2_S2_S2_S2_EEvPKT0_PKT1_PT2_iii15HIP_vector_typeIjLj3EESC_SC_SC_SC_iiiiiiiiiiiDpT3_,"axG",@progbits,_ZL11k_bin_bcastIXadL_ZL6op_mulffEE6__halffS0_JPKfS2_S2_S2_S2_S2_S2_EEvPKT0_PKT1_PT2_iii15HIP_vector_typeIjLj3EESC_SC_SC_SC_iiiiiiiiiiiDpT3_,comdat
	.globl	_ZL11k_bin_bcastIXadL_ZL6op_mulffEE6__halffS0_JPKfS2_S2_S2_S2_S2_S2_EEvPKT0_PKT1_PT2_iii15HIP_vector_typeIjLj3EESC_SC_SC_SC_iiiiiiiiiiiDpT3_ ; -- Begin function _ZL11k_bin_bcastIXadL_ZL6op_mulffEE6__halffS0_JPKfS2_S2_S2_S2_S2_S2_EEvPKT0_PKT1_PT2_iii15HIP_vector_typeIjLj3EESC_SC_SC_SC_iiiiiiiiiiiDpT3_
	.p2align	8
	.type	_ZL11k_bin_bcastIXadL_ZL6op_mulffEE6__halffS0_JPKfS2_S2_S2_S2_S2_S2_EEvPKT0_PKT1_PT2_iii15HIP_vector_typeIjLj3EESC_SC_SC_SC_iiiiiiiiiiiDpT3_,@function
_ZL11k_bin_bcastIXadL_ZL6op_mulffEE6__halffS0_JPKfS2_S2_S2_S2_S2_S2_EEvPKT0_PKT1_PT2_iii15HIP_vector_typeIjLj3EESC_SC_SC_SC_iiiiiiiiiiiDpT3_: ; @_ZL11k_bin_bcastIXadL_ZL6op_mulffEE6__halffS0_JPKfS2_S2_S2_S2_S2_S2_EEvPKT0_PKT1_PT2_iii15HIP_vector_typeIjLj3EESC_SC_SC_SC_iiiiiiiiiiiDpT3_
; %bb.0:
	s_clause 0x1
	s_load_b64 s[2:3], s[0:1], 0xd4
	s_load_b256 s[16:23], s[0:1], 0x18
	v_bfe_u32 v1, v0, 20, 10
	s_add_u32 s24, s0, 0xc8
	s_addc_u32 s25, s1, 0
	s_waitcnt lgkmcnt(0)
	s_and_b32 s3, s3, 0xffff
	s_delay_alu instid0(SALU_CYCLE_1) | instskip(SKIP_3) | instid1(VALU_DEP_3)
	v_mad_u64_u32 v[4:5], null, s15, s3, v[1:2]
	v_and_b32_e32 v2, 0x3ff, v0
	v_bfe_u32 v5, v0, 10, 10
	s_lshr_b32 s3, s2, 16
	v_mul_hi_u32 v1, v4, s19
	s_delay_alu instid0(VALU_DEP_1) | instskip(NEXT) | instid1(VALU_DEP_1)
	v_add_nc_u32_e32 v1, v4, v1
	v_lshrrev_b32_e32 v3, s20, v1
	s_and_b32 s20, s2, 0xffff
	s_delay_alu instid0(VALU_DEP_1) | instskip(SKIP_1) | instid1(VALU_DEP_2)
	v_mul_lo_u32 v6, v3, s21
	v_mad_u64_u32 v[0:1], null, s13, s20, v[2:3]
	v_mad_u64_u32 v[1:2], null, s14, s3, v[5:6]
	v_sub_nc_u32_e32 v4, v4, v6
	s_delay_alu instid0(VALU_DEP_3) | instskip(SKIP_1) | instid1(VALU_DEP_3)
	v_cmp_gt_u32_e32 vcc_lo, s16, v0
	v_cmp_gt_u32_e64 s3, s18, v3
	v_cmp_gt_u32_e64 s4, s21, v4
	;; [unrolled: 1-line block ×3, first 2 shown]
	s_delay_alu instid0(VALU_DEP_1)
	s_and_b32 s2, vcc_lo, s2
	s_delay_alu instid0(VALU_DEP_3) | instid1(SALU_CYCLE_1)
	s_and_b32 s2, s2, s3
	s_delay_alu instid0(VALU_DEP_2) | instid1(SALU_CYCLE_1)
	s_and_b32 s2, s2, s4
	s_delay_alu instid0(SALU_CYCLE_1)
	s_and_saveexec_b32 s3, s2
	s_cbranch_execz .LBB141_6
; %bb.1:
	v_cmp_gt_i32_e32 vcc_lo, s16, v0
	s_and_b32 exec_lo, exec_lo, vcc_lo
	s_cbranch_execz .LBB141_6
; %bb.2:
	s_clause 0x2
	s_load_b256 s[36:43], s[0:1], 0x3c
	s_load_b256 s[4:11], s[0:1], 0x60
	s_load_b128 s[12:15], s[0:1], 0x80
	s_waitcnt lgkmcnt(0)
	s_load_b32 s15, s[24:25], 0x0
	s_clause 0x4
	s_load_b32 s17, s[0:1], 0x5c
	s_load_b64 s[18:19], s[0:1], 0x0
	s_load_b32 s21, s[0:1], 0x38
	s_load_b64 s[2:3], s[0:1], 0x10
	s_load_b256 s[24:31], s[0:1], 0xb0
	v_mul_hi_u32 v2, s36, v1
	v_mul_hi_u32 v5, s39, v3
	;; [unrolled: 1-line block ×3, first 2 shown]
	v_mul_lo_u32 v9, v4, s10
	v_mul_lo_u32 v10, v3, s9
	;; [unrolled: 1-line block ×3, first 2 shown]
	v_mov_b32_e32 v6, 0
	v_mul_lo_u32 v12, v4, s6
	v_add_nc_u32_e32 v2, v1, v2
	v_add_nc_u32_e32 v5, v3, v5
	s_delay_alu instid0(VALU_DEP_4) | instskip(SKIP_1) | instid1(VALU_DEP_4)
	v_dual_mov_b32 v8, v6 :: v_dual_add_nc_u32 v7, v4, v7
	v_mul_lo_u32 v13, v3, s5
	v_lshrrev_b32_e32 v2, s37, v2
	s_delay_alu instid0(VALU_DEP_4) | instskip(NEXT) | instid1(VALU_DEP_4)
	v_lshrrev_b32_e32 v15, s40, v5
	v_lshrrev_b32_e32 v16, s43, v7
	v_add3_u32 v5, v10, v11, v9
	v_mul_lo_u32 v14, v1, s4
	v_mul_lo_u32 v9, v2, s38
	v_mul_lo_u32 v10, v15, s41
	s_waitcnt lgkmcnt(0)
	v_mul_lo_u32 v11, v16, s17
	v_lshlrev_b64 v[5:6], 1, v[5:6]
	s_load_b256 s[36:43], s[0:1], 0x90
	s_cmp_lg_u64 s[18:19], 0
	v_mul_lo_u32 v2, s7, v0
	v_add3_u32 v7, v13, v14, v12
	v_sub_nc_u32_e32 v1, v1, v9
	v_sub_nc_u32_e32 v3, v3, v10
	;; [unrolled: 1-line block ×3, first 2 shown]
	v_add_co_u32 v9, vcc_lo, s18, v5
	v_add_co_ci_u32_e32 v5, vcc_lo, s19, v6, vcc_lo
	v_lshlrev_b64 v[7:8], 1, v[7:8]
	s_delay_alu instid0(VALU_DEP_4)
	v_mul_lo_u32 v10, v4, s14
	v_mul_lo_u32 v3, v3, s13
	;; [unrolled: 1-line block ×3, first 2 shown]
	s_cselect_b32 vcc_lo, -1, 0
	s_sub_i32 s5, 0, s21
	v_cndmask_b32_e32 v5, 0, v5, vcc_lo
	v_cndmask_b32_e32 v4, 0, v9, vcc_lo
	v_add_co_u32 v6, vcc_lo, s2, v7
	v_add_co_ci_u32_e32 v7, vcc_lo, s3, v8, vcc_lo
	s_delay_alu instid0(VALU_DEP_3)
	v_cmp_ne_u64_e32 vcc_lo, 0, v[4:5]
	v_add3_u32 v8, v3, v10, v1
	s_mul_i32 s2, s15, s20
	s_mov_b32 s3, 0
	s_mul_i32 s4, s2, s7
	s_branch .LBB141_4
.LBB141_3:                              ;   in Loop: Header=BB141_4 Depth=1
	s_or_b32 exec_lo, exec_lo, s1
	v_mul_hi_u32 v3, s22, v0
	v_add_nc_u32_e32 v2, s4, v2
	s_delay_alu instid0(VALU_DEP_2) | instskip(NEXT) | instid1(VALU_DEP_1)
	v_add_nc_u32_e32 v3, v0, v3
	v_lshrrev_b32_e32 v3, s23, v3
	s_delay_alu instid0(VALU_DEP_1) | instskip(NEXT) | instid1(VALU_DEP_1)
	v_mad_u64_u32 v[9:10], null, s5, v3, v[0:1]
	v_mul_lo_u32 v3, v9, s11
	s_delay_alu instid0(VALU_DEP_1) | instskip(NEXT) | instid1(VALU_DEP_1)
	v_add_co_u32 v9, s0, v3, v8
	v_add_co_ci_u32_e64 v10, null, 0, 0, s0
	s_delay_alu instid0(VALU_DEP_1) | instskip(SKIP_1) | instid1(VALU_DEP_1)
	v_lshlrev_b64 v[9:10], 2, v[9:10]
	s_waitcnt lgkmcnt(0)
	v_add_co_u32 v11, s0, s36, v9
	s_delay_alu instid0(VALU_DEP_1) | instskip(SKIP_1) | instid1(VALU_DEP_1)
	v_add_co_ci_u32_e64 v12, s0, s37, v10, s0
	v_add_co_u32 v13, s0, s38, v9
	v_add_co_ci_u32_e64 v14, s0, s39, v10, s0
	global_load_b32 v3, v[11:12], off
	v_add_co_u32 v11, s0, s40, v9
	s_delay_alu instid0(VALU_DEP_1) | instskip(SKIP_2) | instid1(VALU_DEP_1)
	v_add_co_ci_u32_e64 v12, s0, s41, v10, s0
	global_load_b32 v15, v[13:14], off
	v_add_co_u32 v13, s0, s42, v9
	v_add_co_ci_u32_e64 v14, s0, s43, v10, s0
	global_load_b32 v16, v[11:12], off
	v_add_co_u32 v11, s0, s24, v9
	s_delay_alu instid0(VALU_DEP_1) | instskip(SKIP_2) | instid1(VALU_DEP_1)
	v_add_co_ci_u32_e64 v12, s0, s25, v10, s0
	global_load_b32 v17, v[13:14], off
	v_add_co_u32 v13, s0, s26, v9
	v_add_co_ci_u32_e64 v14, s0, s27, v10, s0
	global_load_b32 v11, v[11:12], off
	v_add_co_u32 v9, s0, s28, v9
	s_delay_alu instid0(VALU_DEP_1)
	v_add_co_ci_u32_e64 v10, s0, s29, v10, s0
	global_load_b32 v12, v[13:14], off
	global_load_b32 v13, v[9:10], off
	s_waitcnt vmcnt(6)
	v_mul_f32_e32 v1, v1, v3
	s_waitcnt vmcnt(5)
	s_delay_alu instid0(VALU_DEP_1) | instskip(SKIP_1) | instid1(VALU_DEP_1)
	v_mul_f32_e32 v1, v1, v15
	s_waitcnt vmcnt(4)
	v_mul_f32_e32 v1, v1, v16
	s_waitcnt vmcnt(3)
	s_delay_alu instid0(VALU_DEP_1) | instskip(SKIP_2) | instid1(VALU_DEP_2)
	v_mul_f32_e32 v3, v1, v17
	v_ashrrev_i32_e32 v1, 31, v0
	s_waitcnt vmcnt(2)
	v_mul_f32_e32 v3, v3, v11
	s_delay_alu instid0(VALU_DEP_2) | instskip(SKIP_2) | instid1(VALU_DEP_3)
	v_lshlrev_b64 v[9:10], 1, v[0:1]
	v_add_nc_u32_e32 v0, s2, v0
	s_waitcnt vmcnt(1)
	v_mul_f32_e32 v1, v3, v12
	s_delay_alu instid0(VALU_DEP_2) | instskip(NEXT) | instid1(VALU_DEP_4)
	v_cmp_le_i32_e64 s0, s16, v0
	v_add_co_u32 v9, s1, v6, v9
	s_delay_alu instid0(VALU_DEP_1)
	v_add_co_ci_u32_e64 v10, s1, v7, v10, s1
	s_waitcnt vmcnt(0)
	v_fma_mixlo_f16 v1, v1, v13, 0
	s_or_b32 s3, s0, s3
	global_store_b16 v[9:10], v1, off
	s_and_not1_b32 exec_lo, exec_lo, s3
	s_cbranch_execz .LBB141_6
.LBB141_4:                              ; =>This Inner Loop Header: Depth=1
	v_mov_b32_e32 v1, 0
	s_and_saveexec_b32 s1, vcc_lo
	s_cbranch_execz .LBB141_3
; %bb.5:                                ;   in Loop: Header=BB141_4 Depth=1
	v_ashrrev_i32_e32 v3, 31, v2
	s_delay_alu instid0(VALU_DEP_1) | instskip(NEXT) | instid1(VALU_DEP_1)
	v_lshlrev_b64 v[9:10], 1, v[2:3]
	v_add_co_u32 v9, s0, v4, v9
	s_delay_alu instid0(VALU_DEP_1)
	v_add_co_ci_u32_e64 v10, s0, v5, v10, s0
	global_load_u16 v1, v[9:10], off
	s_waitcnt vmcnt(0)
	v_cvt_f32_f16_e32 v1, v1
	s_branch .LBB141_3
.LBB141_6:
	s_nop 0
	s_sendmsg sendmsg(MSG_DEALLOC_VGPRS)
	s_endpgm
	.section	.rodata,"a",@progbits
	.p2align	6, 0x0
	.amdhsa_kernel _ZL11k_bin_bcastIXadL_ZL6op_mulffEE6__halffS0_JPKfS2_S2_S2_S2_S2_S2_EEvPKT0_PKT1_PT2_iii15HIP_vector_typeIjLj3EESC_SC_SC_SC_iiiiiiiiiiiDpT3_
		.amdhsa_group_segment_fixed_size 0
		.amdhsa_private_segment_fixed_size 0
		.amdhsa_kernarg_size 456
		.amdhsa_user_sgpr_count 13
		.amdhsa_user_sgpr_dispatch_ptr 0
		.amdhsa_user_sgpr_queue_ptr 0
		.amdhsa_user_sgpr_kernarg_segment_ptr 1
		.amdhsa_user_sgpr_dispatch_id 0
		.amdhsa_user_sgpr_private_segment_size 0
		.amdhsa_wavefront_size32 1
		.amdhsa_uses_dynamic_stack 0
		.amdhsa_enable_private_segment 0
		.amdhsa_system_sgpr_workgroup_id_x 1
		.amdhsa_system_sgpr_workgroup_id_y 1
		.amdhsa_system_sgpr_workgroup_id_z 1
		.amdhsa_system_sgpr_workgroup_info 0
		.amdhsa_system_vgpr_workitem_id 2
		.amdhsa_next_free_vgpr 18
		.amdhsa_next_free_sgpr 44
		.amdhsa_reserve_vcc 1
		.amdhsa_float_round_mode_32 0
		.amdhsa_float_round_mode_16_64 0
		.amdhsa_float_denorm_mode_32 3
		.amdhsa_float_denorm_mode_16_64 3
		.amdhsa_dx10_clamp 1
		.amdhsa_ieee_mode 1
		.amdhsa_fp16_overflow 0
		.amdhsa_workgroup_processor_mode 1
		.amdhsa_memory_ordered 1
		.amdhsa_forward_progress 0
		.amdhsa_shared_vgpr_count 0
		.amdhsa_exception_fp_ieee_invalid_op 0
		.amdhsa_exception_fp_denorm_src 0
		.amdhsa_exception_fp_ieee_div_zero 0
		.amdhsa_exception_fp_ieee_overflow 0
		.amdhsa_exception_fp_ieee_underflow 0
		.amdhsa_exception_fp_ieee_inexact 0
		.amdhsa_exception_int_div_zero 0
	.end_amdhsa_kernel
	.section	.text._ZL11k_bin_bcastIXadL_ZL6op_mulffEE6__halffS0_JPKfS2_S2_S2_S2_S2_S2_EEvPKT0_PKT1_PT2_iii15HIP_vector_typeIjLj3EESC_SC_SC_SC_iiiiiiiiiiiDpT3_,"axG",@progbits,_ZL11k_bin_bcastIXadL_ZL6op_mulffEE6__halffS0_JPKfS2_S2_S2_S2_S2_S2_EEvPKT0_PKT1_PT2_iii15HIP_vector_typeIjLj3EESC_SC_SC_SC_iiiiiiiiiiiDpT3_,comdat
.Lfunc_end141:
	.size	_ZL11k_bin_bcastIXadL_ZL6op_mulffEE6__halffS0_JPKfS2_S2_S2_S2_S2_S2_EEvPKT0_PKT1_PT2_iii15HIP_vector_typeIjLj3EESC_SC_SC_SC_iiiiiiiiiiiDpT3_, .Lfunc_end141-_ZL11k_bin_bcastIXadL_ZL6op_mulffEE6__halffS0_JPKfS2_S2_S2_S2_S2_S2_EEvPKT0_PKT1_PT2_iii15HIP_vector_typeIjLj3EESC_SC_SC_SC_iiiiiiiiiiiDpT3_
                                        ; -- End function
	.section	.AMDGPU.csdata,"",@progbits
; Kernel info:
; codeLenInByte = 1100
; NumSgprs: 46
; NumVgprs: 18
; ScratchSize: 0
; MemoryBound: 0
; FloatMode: 240
; IeeeMode: 1
; LDSByteSize: 0 bytes/workgroup (compile time only)
; SGPRBlocks: 5
; VGPRBlocks: 2
; NumSGPRsForWavesPerEU: 46
; NumVGPRsForWavesPerEU: 18
; Occupancy: 16
; WaveLimiterHint : 1
; COMPUTE_PGM_RSRC2:SCRATCH_EN: 0
; COMPUTE_PGM_RSRC2:USER_SGPR: 13
; COMPUTE_PGM_RSRC2:TRAP_HANDLER: 0
; COMPUTE_PGM_RSRC2:TGID_X_EN: 1
; COMPUTE_PGM_RSRC2:TGID_Y_EN: 1
; COMPUTE_PGM_RSRC2:TGID_Z_EN: 1
; COMPUTE_PGM_RSRC2:TIDIG_COMP_CNT: 2
	.section	.text._ZL19k_bin_bcast_unravelIXadL_ZL6op_mulffEE6__halfffJPKfS2_S2_S2_S2_S2_S2_EEvPKT0_PKT1_PT2_15HIP_vector_typeIjLj3EESC_SC_jSC_SC_SC_SC_SC_SC_iiiiiiiiiiiDpT3_,"axG",@progbits,_ZL19k_bin_bcast_unravelIXadL_ZL6op_mulffEE6__halfffJPKfS2_S2_S2_S2_S2_S2_EEvPKT0_PKT1_PT2_15HIP_vector_typeIjLj3EESC_SC_jSC_SC_SC_SC_SC_SC_iiiiiiiiiiiDpT3_,comdat
	.globl	_ZL19k_bin_bcast_unravelIXadL_ZL6op_mulffEE6__halfffJPKfS2_S2_S2_S2_S2_S2_EEvPKT0_PKT1_PT2_15HIP_vector_typeIjLj3EESC_SC_jSC_SC_SC_SC_SC_SC_iiiiiiiiiiiDpT3_ ; -- Begin function _ZL19k_bin_bcast_unravelIXadL_ZL6op_mulffEE6__halfffJPKfS2_S2_S2_S2_S2_S2_EEvPKT0_PKT1_PT2_15HIP_vector_typeIjLj3EESC_SC_jSC_SC_SC_SC_SC_SC_iiiiiiiiiiiDpT3_
	.p2align	8
	.type	_ZL19k_bin_bcast_unravelIXadL_ZL6op_mulffEE6__halfffJPKfS2_S2_S2_S2_S2_S2_EEvPKT0_PKT1_PT2_15HIP_vector_typeIjLj3EESC_SC_jSC_SC_SC_SC_SC_SC_iiiiiiiiiiiDpT3_,@function
_ZL19k_bin_bcast_unravelIXadL_ZL6op_mulffEE6__halfffJPKfS2_S2_S2_S2_S2_S2_EEvPKT0_PKT1_PT2_15HIP_vector_typeIjLj3EESC_SC_jSC_SC_SC_SC_SC_SC_iiiiiiiiiiiDpT3_: ; @_ZL19k_bin_bcast_unravelIXadL_ZL6op_mulffEE6__halfffJPKfS2_S2_S2_S2_S2_S2_EEvPKT0_PKT1_PT2_15HIP_vector_typeIjLj3EESC_SC_jSC_SC_SC_SC_SC_SC_iiiiiiiiiiiDpT3_
; %bb.0:
	s_clause 0x1
	s_load_b32 s2, s[0:1], 0xfc
	s_load_b256 s[4:11], s[0:1], 0x38
	s_waitcnt lgkmcnt(0)
	s_and_b32 s2, s2, 0xffff
	s_delay_alu instid0(SALU_CYCLE_1) | instskip(SKIP_3) | instid1(VALU_DEP_1)
	v_mad_u64_u32 v[2:3], null, s15, s2, v[0:1]
	s_clause 0x1
	s_load_b128 s[12:15], s[0:1], 0x18
	s_load_b32 s2, s[0:1], 0x2c
	v_mul_hi_u32 v0, v2, s6
	s_delay_alu instid0(VALU_DEP_1) | instskip(NEXT) | instid1(VALU_DEP_1)
	v_add_nc_u32_e32 v0, v2, v0
	v_lshrrev_b32_e32 v1, s7, v0
	s_delay_alu instid0(VALU_DEP_1) | instskip(NEXT) | instid1(VALU_DEP_1)
	v_mul_lo_u32 v0, v1, s8
	v_sub_nc_u32_e32 v0, v2, v0
	s_delay_alu instid0(VALU_DEP_1) | instskip(NEXT) | instid1(VALU_DEP_1)
	v_mul_hi_u32 v2, v0, s9
	v_add_nc_u32_e32 v2, v0, v2
	s_delay_alu instid0(VALU_DEP_1) | instskip(NEXT) | instid1(VALU_DEP_1)
	v_lshrrev_b32_e32 v2, s10, v2
	v_mul_lo_u32 v3, v2, s11
	v_cmp_gt_u32_e64 s3, s4, v2
	v_cmp_gt_u32_e64 s4, s5, v1
	s_delay_alu instid0(VALU_DEP_3) | instskip(SKIP_1) | instid1(VALU_DEP_1)
	v_sub_nc_u32_e32 v0, v0, v3
	s_waitcnt lgkmcnt(0)
	v_mul_hi_u32 v3, v0, s12
	s_delay_alu instid0(VALU_DEP_1) | instskip(NEXT) | instid1(VALU_DEP_1)
	v_add_nc_u32_e32 v3, v0, v3
	v_lshrrev_b32_e32 v3, s13, v3
	s_delay_alu instid0(VALU_DEP_1) | instskip(SKIP_1) | instid1(VALU_DEP_2)
	v_mul_lo_u32 v4, v3, s14
	v_cmp_gt_u32_e64 s2, s2, v3
	v_sub_nc_u32_e32 v0, v0, v4
	s_delay_alu instid0(VALU_DEP_1) | instskip(NEXT) | instid1(VALU_DEP_3)
	v_cmp_gt_u32_e32 vcc_lo, s14, v0
	s_and_b32 s2, vcc_lo, s2
	s_delay_alu instid0(SALU_CYCLE_1) | instskip(NEXT) | instid1(SALU_CYCLE_1)
	s_and_b32 s2, s2, s3
	s_and_b32 s2, s4, s2
	s_delay_alu instid0(SALU_CYCLE_1)
	s_and_saveexec_b32 s3, s2
	s_cbranch_execz .LBB142_5
; %bb.1:
	s_clause 0x4
	s_load_b64 s[2:3], s[0:1], 0x0
	s_load_b128 s[20:23], s[0:1], 0xa8
	s_load_b256 s[4:11], s[0:1], 0x88
	s_load_b128 s[24:27], s[0:1], 0x78
	s_load_b256 s[12:19], s[0:1], 0x58
	s_waitcnt lgkmcnt(0)
	s_cmp_eq_u64 s[2:3], 0
	s_cbranch_scc1 .LBB142_3
; %bb.2:
	v_mul_lo_u32 v4, v1, s10
	v_mul_lo_u32 v6, v2, s9
	;; [unrolled: 1-line block ×3, first 2 shown]
	v_mov_b32_e32 v5, 0
	s_delay_alu instid0(VALU_DEP_2) | instskip(NEXT) | instid1(VALU_DEP_1)
	v_add3_u32 v4, v6, v4, v7
	v_lshlrev_b64 v[6:7], 1, v[4:5]
	v_mul_lo_u32 v4, v0, s7
	s_delay_alu instid0(VALU_DEP_2) | instskip(NEXT) | instid1(VALU_DEP_3)
	v_add_co_u32 v6, vcc_lo, s2, v6
	v_add_co_ci_u32_e32 v7, vcc_lo, s3, v7, vcc_lo
	s_delay_alu instid0(VALU_DEP_3) | instskip(NEXT) | instid1(VALU_DEP_1)
	v_lshlrev_b64 v[4:5], 1, v[4:5]
	v_add_co_u32 v4, vcc_lo, v6, v4
	s_delay_alu instid0(VALU_DEP_2)
	v_add_co_ci_u32_e32 v5, vcc_lo, v7, v5, vcc_lo
	global_load_u16 v4, v[4:5], off
	s_waitcnt vmcnt(0)
	v_cvt_f32_f16_e32 v4, v4
	s_branch .LBB142_4
.LBB142_3:
	v_mov_b32_e32 v4, 0
.LBB142_4:
	v_mul_hi_u32 v5, s25, v1
	v_mul_hi_u32 v6, s18, v2
	;; [unrolled: 1-line block ×4, first 2 shown]
	s_delay_alu instid0(VALU_DEP_4) | instskip(NEXT) | instid1(VALU_DEP_4)
	v_add_nc_u32_e32 v5, v1, v5
	v_add_nc_u32_e32 v6, v2, v6
	s_delay_alu instid0(VALU_DEP_4) | instskip(NEXT) | instid1(VALU_DEP_4)
	v_add_nc_u32_e32 v7, v3, v7
	v_add_nc_u32_e32 v8, v0, v8
	s_delay_alu instid0(VALU_DEP_4) | instskip(NEXT) | instid1(VALU_DEP_4)
	v_lshrrev_b32_e32 v5, s26, v5
	v_lshrrev_b32_e32 v6, s19, v6
	s_delay_alu instid0(VALU_DEP_4) | instskip(NEXT) | instid1(VALU_DEP_4)
	v_lshrrev_b32_e32 v7, s16, v7
	v_lshrrev_b32_e32 v8, s13, v8
	s_delay_alu instid0(VALU_DEP_4) | instskip(NEXT) | instid1(VALU_DEP_4)
	v_mul_lo_u32 v5, v5, s27
	v_mul_lo_u32 v6, v6, s24
	s_delay_alu instid0(VALU_DEP_4) | instskip(NEXT) | instid1(VALU_DEP_4)
	v_mul_lo_u32 v7, v7, s17
	v_mul_lo_u32 v8, v8, s14
	s_clause 0x1
	s_load_b64 s[2:3], s[0:1], 0xe8
	s_load_b128 s[16:19], s[0:1], 0xd8
	s_delay_alu instid0(VALU_DEP_4) | instskip(NEXT) | instid1(VALU_DEP_4)
	v_sub_nc_u32_e32 v5, v1, v5
	v_sub_nc_u32_e32 v6, v2, v6
	s_delay_alu instid0(VALU_DEP_4) | instskip(NEXT) | instid1(VALU_DEP_4)
	v_sub_nc_u32_e32 v7, v3, v7
	v_sub_nc_u32_e32 v8, v0, v8
	v_mul_lo_u32 v1, v1, s6
	v_mul_lo_u32 v5, v5, s22
	;; [unrolled: 1-line block ×5, first 2 shown]
	s_clause 0x1
	s_load_b256 s[8:15], s[0:1], 0xb8
	s_load_b64 s[0:1], s[0:1], 0x10
	v_mul_lo_u32 v2, v2, s5
	s_delay_alu instid0(VALU_DEP_3) | instskip(NEXT) | instid1(VALU_DEP_3)
	v_add3_u32 v5, v6, v5, v7
	v_ashrrev_i32_e32 v6, 31, v8
	s_delay_alu instid0(VALU_DEP_2) | instskip(SKIP_1) | instid1(VALU_DEP_2)
	v_ashrrev_i32_e32 v7, 31, v5
	v_add_co_u32 v5, vcc_lo, v8, v5
	v_add_co_ci_u32_e32 v6, vcc_lo, v6, v7, vcc_lo
	s_delay_alu instid0(VALU_DEP_1) | instskip(SKIP_1) | instid1(VALU_DEP_1)
	v_lshlrev_b64 v[5:6], 2, v[5:6]
	s_waitcnt lgkmcnt(0)
	v_add_co_u32 v7, vcc_lo, s8, v5
	s_delay_alu instid0(VALU_DEP_2)
	v_add_co_ci_u32_e32 v8, vcc_lo, s9, v6, vcc_lo
	v_add_co_u32 v9, vcc_lo, s10, v5
	v_add_co_ci_u32_e32 v10, vcc_lo, s11, v6, vcc_lo
	global_load_b32 v11, v[7:8], off
	v_add_co_u32 v7, vcc_lo, s12, v5
	v_add_co_ci_u32_e32 v8, vcc_lo, s13, v6, vcc_lo
	global_load_b32 v12, v[9:10], off
	;; [unrolled: 3-line block ×6, first 2 shown]
	global_load_b32 v5, v[5:6], off
	v_mul_lo_u32 v6, v3, s4
	v_mov_b32_e32 v3, 0
	s_delay_alu instid0(VALU_DEP_2) | instskip(NEXT) | instid1(VALU_DEP_2)
	v_add3_u32 v2, v2, v1, v6
	v_mov_b32_e32 v1, v3
	s_delay_alu instid0(VALU_DEP_2) | instskip(NEXT) | instid1(VALU_DEP_2)
	v_lshlrev_b64 v[2:3], 2, v[2:3]
	v_lshlrev_b64 v[0:1], 2, v[0:1]
	s_delay_alu instid0(VALU_DEP_2) | instskip(NEXT) | instid1(VALU_DEP_3)
	v_add_co_u32 v2, vcc_lo, s0, v2
	v_add_co_ci_u32_e32 v3, vcc_lo, s1, v3, vcc_lo
	s_delay_alu instid0(VALU_DEP_2) | instskip(NEXT) | instid1(VALU_DEP_2)
	v_add_co_u32 v0, vcc_lo, v2, v0
	v_add_co_ci_u32_e32 v1, vcc_lo, v3, v1, vcc_lo
	s_waitcnt vmcnt(6)
	v_mul_f32_e32 v4, v4, v11
	s_waitcnt vmcnt(5)
	s_delay_alu instid0(VALU_DEP_1) | instskip(SKIP_1) | instid1(VALU_DEP_1)
	v_mul_f32_e32 v4, v4, v12
	s_waitcnt vmcnt(4)
	v_mul_f32_e32 v4, v4, v13
	s_waitcnt vmcnt(3)
	s_delay_alu instid0(VALU_DEP_1) | instskip(SKIP_1) | instid1(VALU_DEP_1)
	v_mul_f32_e32 v4, v4, v14
	s_waitcnt vmcnt(2)
	v_mul_f32_e32 v4, v4, v7
	s_waitcnt vmcnt(1)
	s_delay_alu instid0(VALU_DEP_1) | instskip(SKIP_1) | instid1(VALU_DEP_1)
	v_mul_f32_e32 v4, v4, v8
	s_waitcnt vmcnt(0)
	v_mul_f32_e32 v4, v4, v5
	global_store_b32 v[0:1], v4, off
.LBB142_5:
	s_nop 0
	s_sendmsg sendmsg(MSG_DEALLOC_VGPRS)
	s_endpgm
	.section	.rodata,"a",@progbits
	.p2align	6, 0x0
	.amdhsa_kernel _ZL19k_bin_bcast_unravelIXadL_ZL6op_mulffEE6__halfffJPKfS2_S2_S2_S2_S2_S2_EEvPKT0_PKT1_PT2_15HIP_vector_typeIjLj3EESC_SC_jSC_SC_SC_SC_SC_SC_iiiiiiiiiiiDpT3_
		.amdhsa_group_segment_fixed_size 0
		.amdhsa_private_segment_fixed_size 0
		.amdhsa_kernarg_size 496
		.amdhsa_user_sgpr_count 15
		.amdhsa_user_sgpr_dispatch_ptr 0
		.amdhsa_user_sgpr_queue_ptr 0
		.amdhsa_user_sgpr_kernarg_segment_ptr 1
		.amdhsa_user_sgpr_dispatch_id 0
		.amdhsa_user_sgpr_private_segment_size 0
		.amdhsa_wavefront_size32 1
		.amdhsa_uses_dynamic_stack 0
		.amdhsa_enable_private_segment 0
		.amdhsa_system_sgpr_workgroup_id_x 1
		.amdhsa_system_sgpr_workgroup_id_y 0
		.amdhsa_system_sgpr_workgroup_id_z 0
		.amdhsa_system_sgpr_workgroup_info 0
		.amdhsa_system_vgpr_workitem_id 0
		.amdhsa_next_free_vgpr 15
		.amdhsa_next_free_sgpr 28
		.amdhsa_reserve_vcc 1
		.amdhsa_float_round_mode_32 0
		.amdhsa_float_round_mode_16_64 0
		.amdhsa_float_denorm_mode_32 3
		.amdhsa_float_denorm_mode_16_64 3
		.amdhsa_dx10_clamp 1
		.amdhsa_ieee_mode 1
		.amdhsa_fp16_overflow 0
		.amdhsa_workgroup_processor_mode 1
		.amdhsa_memory_ordered 1
		.amdhsa_forward_progress 0
		.amdhsa_shared_vgpr_count 0
		.amdhsa_exception_fp_ieee_invalid_op 0
		.amdhsa_exception_fp_denorm_src 0
		.amdhsa_exception_fp_ieee_div_zero 0
		.amdhsa_exception_fp_ieee_overflow 0
		.amdhsa_exception_fp_ieee_underflow 0
		.amdhsa_exception_fp_ieee_inexact 0
		.amdhsa_exception_int_div_zero 0
	.end_amdhsa_kernel
	.section	.text._ZL19k_bin_bcast_unravelIXadL_ZL6op_mulffEE6__halfffJPKfS2_S2_S2_S2_S2_S2_EEvPKT0_PKT1_PT2_15HIP_vector_typeIjLj3EESC_SC_jSC_SC_SC_SC_SC_SC_iiiiiiiiiiiDpT3_,"axG",@progbits,_ZL19k_bin_bcast_unravelIXadL_ZL6op_mulffEE6__halfffJPKfS2_S2_S2_S2_S2_S2_EEvPKT0_PKT1_PT2_15HIP_vector_typeIjLj3EESC_SC_jSC_SC_SC_SC_SC_SC_iiiiiiiiiiiDpT3_,comdat
.Lfunc_end142:
	.size	_ZL19k_bin_bcast_unravelIXadL_ZL6op_mulffEE6__halfffJPKfS2_S2_S2_S2_S2_S2_EEvPKT0_PKT1_PT2_15HIP_vector_typeIjLj3EESC_SC_jSC_SC_SC_SC_SC_SC_iiiiiiiiiiiDpT3_, .Lfunc_end142-_ZL19k_bin_bcast_unravelIXadL_ZL6op_mulffEE6__halfffJPKfS2_S2_S2_S2_S2_S2_EEvPKT0_PKT1_PT2_15HIP_vector_typeIjLj3EESC_SC_jSC_SC_SC_SC_SC_SC_iiiiiiiiiiiDpT3_
                                        ; -- End function
	.section	.AMDGPU.csdata,"",@progbits
; Kernel info:
; codeLenInByte = 1016
; NumSgprs: 30
; NumVgprs: 15
; ScratchSize: 0
; MemoryBound: 0
; FloatMode: 240
; IeeeMode: 1
; LDSByteSize: 0 bytes/workgroup (compile time only)
; SGPRBlocks: 3
; VGPRBlocks: 1
; NumSGPRsForWavesPerEU: 30
; NumVGPRsForWavesPerEU: 15
; Occupancy: 16
; WaveLimiterHint : 1
; COMPUTE_PGM_RSRC2:SCRATCH_EN: 0
; COMPUTE_PGM_RSRC2:USER_SGPR: 15
; COMPUTE_PGM_RSRC2:TRAP_HANDLER: 0
; COMPUTE_PGM_RSRC2:TGID_X_EN: 1
; COMPUTE_PGM_RSRC2:TGID_Y_EN: 0
; COMPUTE_PGM_RSRC2:TGID_Z_EN: 0
; COMPUTE_PGM_RSRC2:TIDIG_COMP_CNT: 0
	.section	.text._ZL11k_bin_bcastIXadL_ZL6op_mulffEE6__halfffJPKfS2_S2_S2_S2_S2_S2_EEvPKT0_PKT1_PT2_iii15HIP_vector_typeIjLj3EESC_SC_SC_SC_iiiiiiiiiiiDpT3_,"axG",@progbits,_ZL11k_bin_bcastIXadL_ZL6op_mulffEE6__halfffJPKfS2_S2_S2_S2_S2_S2_EEvPKT0_PKT1_PT2_iii15HIP_vector_typeIjLj3EESC_SC_SC_SC_iiiiiiiiiiiDpT3_,comdat
	.globl	_ZL11k_bin_bcastIXadL_ZL6op_mulffEE6__halfffJPKfS2_S2_S2_S2_S2_S2_EEvPKT0_PKT1_PT2_iii15HIP_vector_typeIjLj3EESC_SC_SC_SC_iiiiiiiiiiiDpT3_ ; -- Begin function _ZL11k_bin_bcastIXadL_ZL6op_mulffEE6__halfffJPKfS2_S2_S2_S2_S2_S2_EEvPKT0_PKT1_PT2_iii15HIP_vector_typeIjLj3EESC_SC_SC_SC_iiiiiiiiiiiDpT3_
	.p2align	8
	.type	_ZL11k_bin_bcastIXadL_ZL6op_mulffEE6__halfffJPKfS2_S2_S2_S2_S2_S2_EEvPKT0_PKT1_PT2_iii15HIP_vector_typeIjLj3EESC_SC_SC_SC_iiiiiiiiiiiDpT3_,@function
_ZL11k_bin_bcastIXadL_ZL6op_mulffEE6__halfffJPKfS2_S2_S2_S2_S2_S2_EEvPKT0_PKT1_PT2_iii15HIP_vector_typeIjLj3EESC_SC_SC_SC_iiiiiiiiiiiDpT3_: ; @_ZL11k_bin_bcastIXadL_ZL6op_mulffEE6__halfffJPKfS2_S2_S2_S2_S2_S2_EEvPKT0_PKT1_PT2_iii15HIP_vector_typeIjLj3EESC_SC_SC_SC_iiiiiiiiiiiDpT3_
; %bb.0:
	s_clause 0x1
	s_load_b64 s[2:3], s[0:1], 0xd4
	s_load_b256 s[16:23], s[0:1], 0x18
	v_bfe_u32 v1, v0, 20, 10
	s_add_u32 s24, s0, 0xc8
	s_addc_u32 s25, s1, 0
	s_waitcnt lgkmcnt(0)
	s_and_b32 s3, s3, 0xffff
	s_delay_alu instid0(SALU_CYCLE_1) | instskip(SKIP_3) | instid1(VALU_DEP_3)
	v_mad_u64_u32 v[4:5], null, s15, s3, v[1:2]
	v_and_b32_e32 v2, 0x3ff, v0
	v_bfe_u32 v5, v0, 10, 10
	s_lshr_b32 s3, s2, 16
	v_mul_hi_u32 v1, v4, s19
	s_delay_alu instid0(VALU_DEP_1) | instskip(NEXT) | instid1(VALU_DEP_1)
	v_add_nc_u32_e32 v1, v4, v1
	v_lshrrev_b32_e32 v3, s20, v1
	s_and_b32 s20, s2, 0xffff
	s_delay_alu instid0(VALU_DEP_1) | instskip(SKIP_1) | instid1(VALU_DEP_2)
	v_mul_lo_u32 v6, v3, s21
	v_mad_u64_u32 v[0:1], null, s13, s20, v[2:3]
	v_mad_u64_u32 v[1:2], null, s14, s3, v[5:6]
	v_sub_nc_u32_e32 v4, v4, v6
	s_delay_alu instid0(VALU_DEP_3) | instskip(SKIP_1) | instid1(VALU_DEP_3)
	v_cmp_gt_u32_e32 vcc_lo, s16, v0
	v_cmp_gt_u32_e64 s3, s18, v3
	v_cmp_gt_u32_e64 s4, s21, v4
	;; [unrolled: 1-line block ×3, first 2 shown]
	s_delay_alu instid0(VALU_DEP_1)
	s_and_b32 s2, vcc_lo, s2
	s_delay_alu instid0(VALU_DEP_3) | instid1(SALU_CYCLE_1)
	s_and_b32 s2, s2, s3
	s_delay_alu instid0(VALU_DEP_2) | instid1(SALU_CYCLE_1)
	s_and_b32 s2, s2, s4
	s_delay_alu instid0(SALU_CYCLE_1)
	s_and_saveexec_b32 s3, s2
	s_cbranch_execz .LBB143_6
; %bb.1:
	v_cmp_gt_i32_e32 vcc_lo, s16, v0
	s_and_b32 exec_lo, exec_lo, vcc_lo
	s_cbranch_execz .LBB143_6
; %bb.2:
	s_clause 0x2
	s_load_b256 s[36:43], s[0:1], 0x3c
	s_load_b256 s[4:11], s[0:1], 0x60
	s_load_b128 s[12:15], s[0:1], 0x80
	s_waitcnt lgkmcnt(0)
	s_load_b32 s15, s[24:25], 0x0
	s_clause 0x4
	s_load_b32 s17, s[0:1], 0x5c
	s_load_b64 s[18:19], s[0:1], 0x0
	s_load_b32 s21, s[0:1], 0x38
	s_load_b64 s[2:3], s[0:1], 0x10
	s_load_b256 s[24:31], s[0:1], 0xb0
	v_mul_hi_u32 v2, s36, v1
	v_mul_hi_u32 v5, s39, v3
	;; [unrolled: 1-line block ×3, first 2 shown]
	v_mul_lo_u32 v9, v4, s10
	v_mul_lo_u32 v10, v3, s9
	;; [unrolled: 1-line block ×3, first 2 shown]
	v_mov_b32_e32 v6, 0
	v_mul_lo_u32 v12, v4, s6
	v_add_nc_u32_e32 v2, v1, v2
	v_add_nc_u32_e32 v5, v3, v5
	s_delay_alu instid0(VALU_DEP_4) | instskip(SKIP_1) | instid1(VALU_DEP_4)
	v_dual_mov_b32 v8, v6 :: v_dual_add_nc_u32 v7, v4, v7
	v_mul_lo_u32 v13, v3, s5
	v_lshrrev_b32_e32 v2, s37, v2
	s_delay_alu instid0(VALU_DEP_4) | instskip(NEXT) | instid1(VALU_DEP_4)
	v_lshrrev_b32_e32 v15, s40, v5
	v_lshrrev_b32_e32 v16, s43, v7
	v_add3_u32 v5, v10, v11, v9
	v_mul_lo_u32 v14, v1, s4
	v_mul_lo_u32 v9, v2, s38
	v_mul_lo_u32 v10, v15, s41
	s_waitcnt lgkmcnt(0)
	v_mul_lo_u32 v11, v16, s17
	v_lshlrev_b64 v[5:6], 1, v[5:6]
	s_load_b256 s[36:43], s[0:1], 0x90
	s_cmp_lg_u64 s[18:19], 0
	v_mul_lo_u32 v2, s7, v0
	v_add3_u32 v7, v13, v14, v12
	v_sub_nc_u32_e32 v1, v1, v9
	v_sub_nc_u32_e32 v3, v3, v10
	v_sub_nc_u32_e32 v4, v4, v11
	v_add_co_u32 v9, vcc_lo, s18, v5
	v_add_co_ci_u32_e32 v5, vcc_lo, s19, v6, vcc_lo
	v_lshlrev_b64 v[7:8], 2, v[7:8]
	s_delay_alu instid0(VALU_DEP_4)
	v_mul_lo_u32 v10, v4, s14
	v_mul_lo_u32 v3, v3, s13
	;; [unrolled: 1-line block ×3, first 2 shown]
	s_cselect_b32 vcc_lo, -1, 0
	s_sub_i32 s5, 0, s21
	v_cndmask_b32_e32 v5, 0, v5, vcc_lo
	v_cndmask_b32_e32 v4, 0, v9, vcc_lo
	v_add_co_u32 v6, vcc_lo, s2, v7
	v_add_co_ci_u32_e32 v7, vcc_lo, s3, v8, vcc_lo
	s_delay_alu instid0(VALU_DEP_3)
	v_cmp_ne_u64_e32 vcc_lo, 0, v[4:5]
	v_add3_u32 v8, v3, v10, v1
	s_mul_i32 s2, s15, s20
	s_mov_b32 s3, 0
	s_mul_i32 s4, s2, s7
	s_branch .LBB143_4
.LBB143_3:                              ;   in Loop: Header=BB143_4 Depth=1
	s_or_b32 exec_lo, exec_lo, s1
	v_mul_hi_u32 v3, s22, v0
	v_add_nc_u32_e32 v2, s4, v2
	s_delay_alu instid0(VALU_DEP_2) | instskip(NEXT) | instid1(VALU_DEP_1)
	v_add_nc_u32_e32 v3, v0, v3
	v_lshrrev_b32_e32 v3, s23, v3
	s_delay_alu instid0(VALU_DEP_1) | instskip(NEXT) | instid1(VALU_DEP_1)
	v_mad_u64_u32 v[9:10], null, s5, v3, v[0:1]
	v_mul_lo_u32 v3, v9, s11
	s_delay_alu instid0(VALU_DEP_1) | instskip(NEXT) | instid1(VALU_DEP_1)
	v_add_co_u32 v9, s0, v3, v8
	v_add_co_ci_u32_e64 v10, null, 0, 0, s0
	s_delay_alu instid0(VALU_DEP_1) | instskip(SKIP_1) | instid1(VALU_DEP_1)
	v_lshlrev_b64 v[9:10], 2, v[9:10]
	s_waitcnt lgkmcnt(0)
	v_add_co_u32 v11, s0, s36, v9
	s_delay_alu instid0(VALU_DEP_1) | instskip(SKIP_1) | instid1(VALU_DEP_1)
	v_add_co_ci_u32_e64 v12, s0, s37, v10, s0
	v_add_co_u32 v13, s0, s38, v9
	v_add_co_ci_u32_e64 v14, s0, s39, v10, s0
	global_load_b32 v3, v[11:12], off
	v_add_co_u32 v11, s0, s40, v9
	s_delay_alu instid0(VALU_DEP_1) | instskip(SKIP_2) | instid1(VALU_DEP_1)
	v_add_co_ci_u32_e64 v12, s0, s41, v10, s0
	global_load_b32 v15, v[13:14], off
	v_add_co_u32 v13, s0, s42, v9
	v_add_co_ci_u32_e64 v14, s0, s43, v10, s0
	global_load_b32 v16, v[11:12], off
	v_add_co_u32 v11, s0, s24, v9
	s_delay_alu instid0(VALU_DEP_1) | instskip(SKIP_2) | instid1(VALU_DEP_1)
	v_add_co_ci_u32_e64 v12, s0, s25, v10, s0
	global_load_b32 v17, v[13:14], off
	v_add_co_u32 v13, s0, s26, v9
	v_add_co_ci_u32_e64 v14, s0, s27, v10, s0
	global_load_b32 v11, v[11:12], off
	v_add_co_u32 v9, s0, s28, v9
	s_delay_alu instid0(VALU_DEP_1)
	v_add_co_ci_u32_e64 v10, s0, s29, v10, s0
	global_load_b32 v12, v[13:14], off
	global_load_b32 v13, v[9:10], off
	s_waitcnt vmcnt(6)
	v_mul_f32_e32 v1, v1, v3
	s_waitcnt vmcnt(5)
	s_delay_alu instid0(VALU_DEP_1) | instskip(SKIP_1) | instid1(VALU_DEP_1)
	v_mul_f32_e32 v1, v1, v15
	s_waitcnt vmcnt(4)
	v_mul_f32_e32 v1, v1, v16
	s_waitcnt vmcnt(3)
	s_delay_alu instid0(VALU_DEP_1) | instskip(SKIP_2) | instid1(VALU_DEP_2)
	v_mul_f32_e32 v3, v1, v17
	v_ashrrev_i32_e32 v1, 31, v0
	s_waitcnt vmcnt(2)
	v_mul_f32_e32 v3, v3, v11
	s_delay_alu instid0(VALU_DEP_2) | instskip(SKIP_2) | instid1(VALU_DEP_3)
	v_lshlrev_b64 v[9:10], 2, v[0:1]
	v_add_nc_u32_e32 v0, s2, v0
	s_waitcnt vmcnt(1)
	v_mul_f32_e32 v1, v3, v12
	s_delay_alu instid0(VALU_DEP_2) | instskip(NEXT) | instid1(VALU_DEP_4)
	v_cmp_le_i32_e64 s0, s16, v0
	v_add_co_u32 v9, s1, v6, v9
	s_delay_alu instid0(VALU_DEP_1)
	v_add_co_ci_u32_e64 v10, s1, v7, v10, s1
	s_waitcnt vmcnt(0)
	v_mul_f32_e32 v1, v1, v13
	s_or_b32 s3, s0, s3
	global_store_b32 v[9:10], v1, off
	s_and_not1_b32 exec_lo, exec_lo, s3
	s_cbranch_execz .LBB143_6
.LBB143_4:                              ; =>This Inner Loop Header: Depth=1
	v_mov_b32_e32 v1, 0
	s_and_saveexec_b32 s1, vcc_lo
	s_cbranch_execz .LBB143_3
; %bb.5:                                ;   in Loop: Header=BB143_4 Depth=1
	v_ashrrev_i32_e32 v3, 31, v2
	s_delay_alu instid0(VALU_DEP_1) | instskip(NEXT) | instid1(VALU_DEP_1)
	v_lshlrev_b64 v[9:10], 1, v[2:3]
	v_add_co_u32 v9, s0, v4, v9
	s_delay_alu instid0(VALU_DEP_1)
	v_add_co_ci_u32_e64 v10, s0, v5, v10, s0
	global_load_u16 v1, v[9:10], off
	s_waitcnt vmcnt(0)
	v_cvt_f32_f16_e32 v1, v1
	s_branch .LBB143_3
.LBB143_6:
	s_nop 0
	s_sendmsg sendmsg(MSG_DEALLOC_VGPRS)
	s_endpgm
	.section	.rodata,"a",@progbits
	.p2align	6, 0x0
	.amdhsa_kernel _ZL11k_bin_bcastIXadL_ZL6op_mulffEE6__halfffJPKfS2_S2_S2_S2_S2_S2_EEvPKT0_PKT1_PT2_iii15HIP_vector_typeIjLj3EESC_SC_SC_SC_iiiiiiiiiiiDpT3_
		.amdhsa_group_segment_fixed_size 0
		.amdhsa_private_segment_fixed_size 0
		.amdhsa_kernarg_size 456
		.amdhsa_user_sgpr_count 13
		.amdhsa_user_sgpr_dispatch_ptr 0
		.amdhsa_user_sgpr_queue_ptr 0
		.amdhsa_user_sgpr_kernarg_segment_ptr 1
		.amdhsa_user_sgpr_dispatch_id 0
		.amdhsa_user_sgpr_private_segment_size 0
		.amdhsa_wavefront_size32 1
		.amdhsa_uses_dynamic_stack 0
		.amdhsa_enable_private_segment 0
		.amdhsa_system_sgpr_workgroup_id_x 1
		.amdhsa_system_sgpr_workgroup_id_y 1
		.amdhsa_system_sgpr_workgroup_id_z 1
		.amdhsa_system_sgpr_workgroup_info 0
		.amdhsa_system_vgpr_workitem_id 2
		.amdhsa_next_free_vgpr 18
		.amdhsa_next_free_sgpr 44
		.amdhsa_reserve_vcc 1
		.amdhsa_float_round_mode_32 0
		.amdhsa_float_round_mode_16_64 0
		.amdhsa_float_denorm_mode_32 3
		.amdhsa_float_denorm_mode_16_64 3
		.amdhsa_dx10_clamp 1
		.amdhsa_ieee_mode 1
		.amdhsa_fp16_overflow 0
		.amdhsa_workgroup_processor_mode 1
		.amdhsa_memory_ordered 1
		.amdhsa_forward_progress 0
		.amdhsa_shared_vgpr_count 0
		.amdhsa_exception_fp_ieee_invalid_op 0
		.amdhsa_exception_fp_denorm_src 0
		.amdhsa_exception_fp_ieee_div_zero 0
		.amdhsa_exception_fp_ieee_overflow 0
		.amdhsa_exception_fp_ieee_underflow 0
		.amdhsa_exception_fp_ieee_inexact 0
		.amdhsa_exception_int_div_zero 0
	.end_amdhsa_kernel
	.section	.text._ZL11k_bin_bcastIXadL_ZL6op_mulffEE6__halfffJPKfS2_S2_S2_S2_S2_S2_EEvPKT0_PKT1_PT2_iii15HIP_vector_typeIjLj3EESC_SC_SC_SC_iiiiiiiiiiiDpT3_,"axG",@progbits,_ZL11k_bin_bcastIXadL_ZL6op_mulffEE6__halfffJPKfS2_S2_S2_S2_S2_S2_EEvPKT0_PKT1_PT2_iii15HIP_vector_typeIjLj3EESC_SC_SC_SC_iiiiiiiiiiiDpT3_,comdat
.Lfunc_end143:
	.size	_ZL11k_bin_bcastIXadL_ZL6op_mulffEE6__halfffJPKfS2_S2_S2_S2_S2_S2_EEvPKT0_PKT1_PT2_iii15HIP_vector_typeIjLj3EESC_SC_SC_SC_iiiiiiiiiiiDpT3_, .Lfunc_end143-_ZL11k_bin_bcastIXadL_ZL6op_mulffEE6__halfffJPKfS2_S2_S2_S2_S2_S2_EEvPKT0_PKT1_PT2_iii15HIP_vector_typeIjLj3EESC_SC_SC_SC_iiiiiiiiiiiDpT3_
                                        ; -- End function
	.section	.AMDGPU.csdata,"",@progbits
; Kernel info:
; codeLenInByte = 1096
; NumSgprs: 46
; NumVgprs: 18
; ScratchSize: 0
; MemoryBound: 0
; FloatMode: 240
; IeeeMode: 1
; LDSByteSize: 0 bytes/workgroup (compile time only)
; SGPRBlocks: 5
; VGPRBlocks: 2
; NumSGPRsForWavesPerEU: 46
; NumVGPRsForWavesPerEU: 18
; Occupancy: 16
; WaveLimiterHint : 1
; COMPUTE_PGM_RSRC2:SCRATCH_EN: 0
; COMPUTE_PGM_RSRC2:USER_SGPR: 13
; COMPUTE_PGM_RSRC2:TRAP_HANDLER: 0
; COMPUTE_PGM_RSRC2:TGID_X_EN: 1
; COMPUTE_PGM_RSRC2:TGID_Y_EN: 1
; COMPUTE_PGM_RSRC2:TGID_Z_EN: 1
; COMPUTE_PGM_RSRC2:TIDIG_COMP_CNT: 2
	.section	.text._ZL19k_bin_bcast_unravelIXadL_ZL6op_mulffEEfffJPKfS1_S1_S1_S1_S1_S1_S1_EEvPKT0_PKT1_PT2_15HIP_vector_typeIjLj3EESB_SB_jSB_SB_SB_SB_SB_SB_iiiiiiiiiiiDpT3_,"axG",@progbits,_ZL19k_bin_bcast_unravelIXadL_ZL6op_mulffEEfffJPKfS1_S1_S1_S1_S1_S1_S1_EEvPKT0_PKT1_PT2_15HIP_vector_typeIjLj3EESB_SB_jSB_SB_SB_SB_SB_SB_iiiiiiiiiiiDpT3_,comdat
	.globl	_ZL19k_bin_bcast_unravelIXadL_ZL6op_mulffEEfffJPKfS1_S1_S1_S1_S1_S1_S1_EEvPKT0_PKT1_PT2_15HIP_vector_typeIjLj3EESB_SB_jSB_SB_SB_SB_SB_SB_iiiiiiiiiiiDpT3_ ; -- Begin function _ZL19k_bin_bcast_unravelIXadL_ZL6op_mulffEEfffJPKfS1_S1_S1_S1_S1_S1_S1_EEvPKT0_PKT1_PT2_15HIP_vector_typeIjLj3EESB_SB_jSB_SB_SB_SB_SB_SB_iiiiiiiiiiiDpT3_
	.p2align	8
	.type	_ZL19k_bin_bcast_unravelIXadL_ZL6op_mulffEEfffJPKfS1_S1_S1_S1_S1_S1_S1_EEvPKT0_PKT1_PT2_15HIP_vector_typeIjLj3EESB_SB_jSB_SB_SB_SB_SB_SB_iiiiiiiiiiiDpT3_,@function
_ZL19k_bin_bcast_unravelIXadL_ZL6op_mulffEEfffJPKfS1_S1_S1_S1_S1_S1_S1_EEvPKT0_PKT1_PT2_15HIP_vector_typeIjLj3EESB_SB_jSB_SB_SB_SB_SB_SB_iiiiiiiiiiiDpT3_: ; @_ZL19k_bin_bcast_unravelIXadL_ZL6op_mulffEEfffJPKfS1_S1_S1_S1_S1_S1_S1_EEvPKT0_PKT1_PT2_15HIP_vector_typeIjLj3EESB_SB_jSB_SB_SB_SB_SB_SB_iiiiiiiiiiiDpT3_
; %bb.0:
	s_clause 0x1
	s_load_b32 s2, s[0:1], 0x104
	s_load_b256 s[4:11], s[0:1], 0x38
	s_waitcnt lgkmcnt(0)
	s_and_b32 s2, s2, 0xffff
	s_delay_alu instid0(SALU_CYCLE_1) | instskip(SKIP_3) | instid1(VALU_DEP_1)
	v_mad_u64_u32 v[2:3], null, s15, s2, v[0:1]
	s_clause 0x1
	s_load_b128 s[12:15], s[0:1], 0x18
	s_load_b32 s2, s[0:1], 0x2c
	v_mul_hi_u32 v0, v2, s6
	s_delay_alu instid0(VALU_DEP_1) | instskip(NEXT) | instid1(VALU_DEP_1)
	v_add_nc_u32_e32 v0, v2, v0
	v_lshrrev_b32_e32 v1, s7, v0
	s_delay_alu instid0(VALU_DEP_1) | instskip(NEXT) | instid1(VALU_DEP_1)
	v_mul_lo_u32 v0, v1, s8
	v_sub_nc_u32_e32 v0, v2, v0
	s_delay_alu instid0(VALU_DEP_1) | instskip(NEXT) | instid1(VALU_DEP_1)
	v_mul_hi_u32 v2, v0, s9
	v_add_nc_u32_e32 v2, v0, v2
	s_delay_alu instid0(VALU_DEP_1) | instskip(NEXT) | instid1(VALU_DEP_1)
	v_lshrrev_b32_e32 v2, s10, v2
	v_mul_lo_u32 v3, v2, s11
	v_cmp_gt_u32_e64 s3, s4, v2
	v_cmp_gt_u32_e64 s4, s5, v1
	s_delay_alu instid0(VALU_DEP_3) | instskip(SKIP_1) | instid1(VALU_DEP_1)
	v_sub_nc_u32_e32 v0, v0, v3
	s_waitcnt lgkmcnt(0)
	v_mul_hi_u32 v3, v0, s12
	s_delay_alu instid0(VALU_DEP_1) | instskip(NEXT) | instid1(VALU_DEP_1)
	v_add_nc_u32_e32 v3, v0, v3
	v_lshrrev_b32_e32 v3, s13, v3
	s_delay_alu instid0(VALU_DEP_1) | instskip(SKIP_1) | instid1(VALU_DEP_2)
	v_mul_lo_u32 v4, v3, s14
	v_cmp_gt_u32_e64 s2, s2, v3
	v_sub_nc_u32_e32 v0, v0, v4
	s_delay_alu instid0(VALU_DEP_1) | instskip(NEXT) | instid1(VALU_DEP_3)
	v_cmp_gt_u32_e32 vcc_lo, s14, v0
	s_and_b32 s2, vcc_lo, s2
	s_delay_alu instid0(SALU_CYCLE_1) | instskip(NEXT) | instid1(SALU_CYCLE_1)
	s_and_b32 s2, s2, s3
	s_and_b32 s2, s4, s2
	s_delay_alu instid0(SALU_CYCLE_1)
	s_and_saveexec_b32 s3, s2
	s_cbranch_execz .LBB144_5
; %bb.1:
	s_clause 0x4
	s_load_b64 s[2:3], s[0:1], 0x0
	s_load_b128 s[12:15], s[0:1], 0xa8
	s_load_b256 s[20:27], s[0:1], 0x88
	s_load_b128 s[16:19], s[0:1], 0x78
	s_load_b256 s[4:11], s[0:1], 0x58
	s_waitcnt lgkmcnt(0)
	s_cmp_eq_u64 s[2:3], 0
	s_cbranch_scc1 .LBB144_3
; %bb.2:
	v_mul_lo_u32 v4, v1, s26
	v_mul_lo_u32 v6, v2, s25
	;; [unrolled: 1-line block ×3, first 2 shown]
	v_mov_b32_e32 v5, 0
	s_delay_alu instid0(VALU_DEP_2) | instskip(NEXT) | instid1(VALU_DEP_1)
	v_add3_u32 v4, v6, v4, v7
	v_lshlrev_b64 v[6:7], 2, v[4:5]
	v_mul_lo_u32 v4, v0, s23
	s_delay_alu instid0(VALU_DEP_2) | instskip(NEXT) | instid1(VALU_DEP_3)
	v_add_co_u32 v6, vcc_lo, s2, v6
	v_add_co_ci_u32_e32 v7, vcc_lo, s3, v7, vcc_lo
	s_delay_alu instid0(VALU_DEP_3) | instskip(NEXT) | instid1(VALU_DEP_1)
	v_lshlrev_b64 v[4:5], 2, v[4:5]
	v_add_co_u32 v4, vcc_lo, v6, v4
	s_delay_alu instid0(VALU_DEP_2)
	v_add_co_ci_u32_e32 v5, vcc_lo, v7, v5, vcc_lo
	global_load_b32 v4, v[4:5], off
	s_branch .LBB144_4
.LBB144_3:
	v_mov_b32_e32 v4, 0
.LBB144_4:
	v_mul_hi_u32 v5, s17, v1
	v_mul_hi_u32 v6, s10, v2
	;; [unrolled: 1-line block ×4, first 2 shown]
	s_delay_alu instid0(VALU_DEP_4) | instskip(NEXT) | instid1(VALU_DEP_4)
	v_add_nc_u32_e32 v5, v1, v5
	v_add_nc_u32_e32 v6, v2, v6
	s_delay_alu instid0(VALU_DEP_4) | instskip(NEXT) | instid1(VALU_DEP_4)
	v_add_nc_u32_e32 v7, v3, v7
	v_add_nc_u32_e32 v8, v0, v8
	s_delay_alu instid0(VALU_DEP_4) | instskip(NEXT) | instid1(VALU_DEP_4)
	v_lshrrev_b32_e32 v5, s18, v5
	v_lshrrev_b32_e32 v6, s11, v6
	s_delay_alu instid0(VALU_DEP_4) | instskip(NEXT) | instid1(VALU_DEP_4)
	v_lshrrev_b32_e32 v7, s8, v7
	v_lshrrev_b32_e32 v8, s5, v8
	s_delay_alu instid0(VALU_DEP_4) | instskip(NEXT) | instid1(VALU_DEP_4)
	v_mul_lo_u32 v5, v5, s19
	v_mul_lo_u32 v6, v6, s16
	s_delay_alu instid0(VALU_DEP_4) | instskip(NEXT) | instid1(VALU_DEP_4)
	v_mul_lo_u32 v7, v7, s9
	v_mul_lo_u32 v8, v8, s6
	s_delay_alu instid0(VALU_DEP_4) | instskip(NEXT) | instid1(VALU_DEP_4)
	v_sub_nc_u32_e32 v5, v1, v5
	v_sub_nc_u32_e32 v6, v2, v6
	s_delay_alu instid0(VALU_DEP_4) | instskip(NEXT) | instid1(VALU_DEP_4)
	v_sub_nc_u32_e32 v7, v3, v7
	v_sub_nc_u32_e32 v8, v0, v8
	v_mul_lo_u32 v1, v1, s22
	v_mul_lo_u32 v5, v5, s14
	;; [unrolled: 1-line block ×5, first 2 shown]
	s_clause 0x1
	s_load_b512 s[4:19], s[0:1], 0xb8
	s_load_b64 s[0:1], s[0:1], 0x10
	v_mul_lo_u32 v2, v2, s21
	s_delay_alu instid0(VALU_DEP_3) | instskip(NEXT) | instid1(VALU_DEP_3)
	v_add3_u32 v5, v6, v5, v7
	v_ashrrev_i32_e32 v6, 31, v8
	s_delay_alu instid0(VALU_DEP_2) | instskip(SKIP_1) | instid1(VALU_DEP_2)
	v_ashrrev_i32_e32 v7, 31, v5
	v_add_co_u32 v5, vcc_lo, v8, v5
	v_add_co_ci_u32_e32 v6, vcc_lo, v6, v7, vcc_lo
	s_delay_alu instid0(VALU_DEP_1) | instskip(SKIP_1) | instid1(VALU_DEP_1)
	v_lshlrev_b64 v[5:6], 2, v[5:6]
	s_waitcnt lgkmcnt(0)
	v_add_co_u32 v7, vcc_lo, s4, v5
	s_delay_alu instid0(VALU_DEP_2)
	v_add_co_ci_u32_e32 v8, vcc_lo, s5, v6, vcc_lo
	v_add_co_u32 v9, vcc_lo, s6, v5
	v_add_co_ci_u32_e32 v10, vcc_lo, s7, v6, vcc_lo
	global_load_b32 v11, v[7:8], off
	v_add_co_u32 v7, vcc_lo, s8, v5
	v_add_co_ci_u32_e32 v8, vcc_lo, s9, v6, vcc_lo
	global_load_b32 v12, v[9:10], off
	;; [unrolled: 3-line block ×7, first 2 shown]
	global_load_b32 v5, v[5:6], off
	v_mul_lo_u32 v6, v3, s20
	v_mov_b32_e32 v3, 0
	s_delay_alu instid0(VALU_DEP_2) | instskip(NEXT) | instid1(VALU_DEP_2)
	v_add3_u32 v2, v2, v1, v6
	v_mov_b32_e32 v1, v3
	s_delay_alu instid0(VALU_DEP_2) | instskip(NEXT) | instid1(VALU_DEP_2)
	v_lshlrev_b64 v[2:3], 2, v[2:3]
	v_lshlrev_b64 v[0:1], 2, v[0:1]
	s_delay_alu instid0(VALU_DEP_2) | instskip(NEXT) | instid1(VALU_DEP_3)
	v_add_co_u32 v2, vcc_lo, s0, v2
	v_add_co_ci_u32_e32 v3, vcc_lo, s1, v3, vcc_lo
	s_delay_alu instid0(VALU_DEP_2) | instskip(NEXT) | instid1(VALU_DEP_2)
	v_add_co_u32 v0, vcc_lo, v2, v0
	v_add_co_ci_u32_e32 v1, vcc_lo, v3, v1, vcc_lo
	s_waitcnt vmcnt(7)
	v_mul_f32_e32 v4, v4, v11
	s_waitcnt vmcnt(6)
	s_delay_alu instid0(VALU_DEP_1) | instskip(SKIP_1) | instid1(VALU_DEP_1)
	v_mul_f32_e32 v4, v4, v12
	s_waitcnt vmcnt(5)
	v_mul_f32_e32 v4, v4, v13
	s_waitcnt vmcnt(4)
	s_delay_alu instid0(VALU_DEP_1) | instskip(SKIP_1) | instid1(VALU_DEP_1)
	v_mul_f32_e32 v4, v4, v14
	;; [unrolled: 5-line block ×3, first 2 shown]
	s_waitcnt vmcnt(1)
	v_mul_f32_e32 v4, v4, v7
	s_waitcnt vmcnt(0)
	s_delay_alu instid0(VALU_DEP_1)
	v_mul_f32_e32 v4, v4, v5
	global_store_b32 v[0:1], v4, off
.LBB144_5:
	s_nop 0
	s_sendmsg sendmsg(MSG_DEALLOC_VGPRS)
	s_endpgm
	.section	.rodata,"a",@progbits
	.p2align	6, 0x0
	.amdhsa_kernel _ZL19k_bin_bcast_unravelIXadL_ZL6op_mulffEEfffJPKfS1_S1_S1_S1_S1_S1_S1_EEvPKT0_PKT1_PT2_15HIP_vector_typeIjLj3EESB_SB_jSB_SB_SB_SB_SB_SB_iiiiiiiiiiiDpT3_
		.amdhsa_group_segment_fixed_size 0
		.amdhsa_private_segment_fixed_size 0
		.amdhsa_kernarg_size 504
		.amdhsa_user_sgpr_count 15
		.amdhsa_user_sgpr_dispatch_ptr 0
		.amdhsa_user_sgpr_queue_ptr 0
		.amdhsa_user_sgpr_kernarg_segment_ptr 1
		.amdhsa_user_sgpr_dispatch_id 0
		.amdhsa_user_sgpr_private_segment_size 0
		.amdhsa_wavefront_size32 1
		.amdhsa_uses_dynamic_stack 0
		.amdhsa_enable_private_segment 0
		.amdhsa_system_sgpr_workgroup_id_x 1
		.amdhsa_system_sgpr_workgroup_id_y 0
		.amdhsa_system_sgpr_workgroup_id_z 0
		.amdhsa_system_sgpr_workgroup_info 0
		.amdhsa_system_vgpr_workitem_id 0
		.amdhsa_next_free_vgpr 16
		.amdhsa_next_free_sgpr 28
		.amdhsa_reserve_vcc 1
		.amdhsa_float_round_mode_32 0
		.amdhsa_float_round_mode_16_64 0
		.amdhsa_float_denorm_mode_32 3
		.amdhsa_float_denorm_mode_16_64 3
		.amdhsa_dx10_clamp 1
		.amdhsa_ieee_mode 1
		.amdhsa_fp16_overflow 0
		.amdhsa_workgroup_processor_mode 1
		.amdhsa_memory_ordered 1
		.amdhsa_forward_progress 0
		.amdhsa_shared_vgpr_count 0
		.amdhsa_exception_fp_ieee_invalid_op 0
		.amdhsa_exception_fp_denorm_src 0
		.amdhsa_exception_fp_ieee_div_zero 0
		.amdhsa_exception_fp_ieee_overflow 0
		.amdhsa_exception_fp_ieee_underflow 0
		.amdhsa_exception_fp_ieee_inexact 0
		.amdhsa_exception_int_div_zero 0
	.end_amdhsa_kernel
	.section	.text._ZL19k_bin_bcast_unravelIXadL_ZL6op_mulffEEfffJPKfS1_S1_S1_S1_S1_S1_S1_EEvPKT0_PKT1_PT2_15HIP_vector_typeIjLj3EESB_SB_jSB_SB_SB_SB_SB_SB_iiiiiiiiiiiDpT3_,"axG",@progbits,_ZL19k_bin_bcast_unravelIXadL_ZL6op_mulffEEfffJPKfS1_S1_S1_S1_S1_S1_S1_EEvPKT0_PKT1_PT2_15HIP_vector_typeIjLj3EESB_SB_jSB_SB_SB_SB_SB_SB_iiiiiiiiiiiDpT3_,comdat
.Lfunc_end144:
	.size	_ZL19k_bin_bcast_unravelIXadL_ZL6op_mulffEEfffJPKfS1_S1_S1_S1_S1_S1_S1_EEvPKT0_PKT1_PT2_15HIP_vector_typeIjLj3EESB_SB_jSB_SB_SB_SB_SB_SB_iiiiiiiiiiiDpT3_, .Lfunc_end144-_ZL19k_bin_bcast_unravelIXadL_ZL6op_mulffEEfffJPKfS1_S1_S1_S1_S1_S1_S1_EEvPKT0_PKT1_PT2_15HIP_vector_typeIjLj3EESB_SB_jSB_SB_SB_SB_SB_SB_iiiiiiiiiiiDpT3_
                                        ; -- End function
	.section	.AMDGPU.csdata,"",@progbits
; Kernel info:
; codeLenInByte = 1020
; NumSgprs: 30
; NumVgprs: 16
; ScratchSize: 0
; MemoryBound: 0
; FloatMode: 240
; IeeeMode: 1
; LDSByteSize: 0 bytes/workgroup (compile time only)
; SGPRBlocks: 3
; VGPRBlocks: 1
; NumSGPRsForWavesPerEU: 30
; NumVGPRsForWavesPerEU: 16
; Occupancy: 16
; WaveLimiterHint : 1
; COMPUTE_PGM_RSRC2:SCRATCH_EN: 0
; COMPUTE_PGM_RSRC2:USER_SGPR: 15
; COMPUTE_PGM_RSRC2:TRAP_HANDLER: 0
; COMPUTE_PGM_RSRC2:TGID_X_EN: 1
; COMPUTE_PGM_RSRC2:TGID_Y_EN: 0
; COMPUTE_PGM_RSRC2:TGID_Z_EN: 0
; COMPUTE_PGM_RSRC2:TIDIG_COMP_CNT: 0
	.section	.text._ZL11k_bin_bcastIXadL_ZL6op_mulffEEfffJPKfS1_S1_S1_S1_S1_S1_S1_EEvPKT0_PKT1_PT2_iii15HIP_vector_typeIjLj3EESB_SB_SB_SB_iiiiiiiiiiiDpT3_,"axG",@progbits,_ZL11k_bin_bcastIXadL_ZL6op_mulffEEfffJPKfS1_S1_S1_S1_S1_S1_S1_EEvPKT0_PKT1_PT2_iii15HIP_vector_typeIjLj3EESB_SB_SB_SB_iiiiiiiiiiiDpT3_,comdat
	.globl	_ZL11k_bin_bcastIXadL_ZL6op_mulffEEfffJPKfS1_S1_S1_S1_S1_S1_S1_EEvPKT0_PKT1_PT2_iii15HIP_vector_typeIjLj3EESB_SB_SB_SB_iiiiiiiiiiiDpT3_ ; -- Begin function _ZL11k_bin_bcastIXadL_ZL6op_mulffEEfffJPKfS1_S1_S1_S1_S1_S1_S1_EEvPKT0_PKT1_PT2_iii15HIP_vector_typeIjLj3EESB_SB_SB_SB_iiiiiiiiiiiDpT3_
	.p2align	8
	.type	_ZL11k_bin_bcastIXadL_ZL6op_mulffEEfffJPKfS1_S1_S1_S1_S1_S1_S1_EEvPKT0_PKT1_PT2_iii15HIP_vector_typeIjLj3EESB_SB_SB_SB_iiiiiiiiiiiDpT3_,@function
_ZL11k_bin_bcastIXadL_ZL6op_mulffEEfffJPKfS1_S1_S1_S1_S1_S1_S1_EEvPKT0_PKT1_PT2_iii15HIP_vector_typeIjLj3EESB_SB_SB_SB_iiiiiiiiiiiDpT3_: ; @_ZL11k_bin_bcastIXadL_ZL6op_mulffEEfffJPKfS1_S1_S1_S1_S1_S1_S1_EEvPKT0_PKT1_PT2_iii15HIP_vector_typeIjLj3EESB_SB_SB_SB_iiiiiiiiiiiDpT3_
; %bb.0:
	s_clause 0x1
	s_load_b64 s[2:3], s[0:1], 0xdc
	s_load_b256 s[20:27], s[0:1], 0x18
	v_bfe_u32 v1, v0, 20, 10
	s_add_u32 s16, s0, 0xd0
	s_addc_u32 s17, s1, 0
	s_waitcnt lgkmcnt(0)
	s_and_b32 s3, s3, 0xffff
	s_delay_alu instid0(SALU_CYCLE_1) | instskip(SKIP_3) | instid1(VALU_DEP_3)
	v_mad_u64_u32 v[4:5], null, s15, s3, v[1:2]
	v_and_b32_e32 v2, 0x3ff, v0
	v_bfe_u32 v5, v0, 10, 10
	s_lshr_b32 s3, s2, 16
	v_mul_hi_u32 v1, v4, s23
	s_and_b32 s23, s2, 0xffff
	s_delay_alu instid0(VALU_DEP_1) | instskip(NEXT) | instid1(VALU_DEP_1)
	v_add_nc_u32_e32 v1, v4, v1
	v_lshrrev_b32_e32 v3, s24, v1
	s_delay_alu instid0(VALU_DEP_1) | instskip(SKIP_1) | instid1(VALU_DEP_2)
	v_mul_lo_u32 v6, v3, s25
	v_mad_u64_u32 v[0:1], null, s13, s23, v[2:3]
	v_mad_u64_u32 v[1:2], null, s14, s3, v[5:6]
	v_sub_nc_u32_e32 v4, v4, v6
	s_delay_alu instid0(VALU_DEP_3) | instskip(SKIP_1) | instid1(VALU_DEP_3)
	v_cmp_gt_u32_e32 vcc_lo, s20, v0
	v_cmp_gt_u32_e64 s3, s22, v3
	v_cmp_gt_u32_e64 s4, s25, v4
	;; [unrolled: 1-line block ×3, first 2 shown]
	s_delay_alu instid0(VALU_DEP_1)
	s_and_b32 s2, vcc_lo, s2
	s_delay_alu instid0(VALU_DEP_3) | instid1(SALU_CYCLE_1)
	s_and_b32 s2, s2, s3
	s_delay_alu instid0(VALU_DEP_2) | instid1(SALU_CYCLE_1)
	s_and_b32 s2, s2, s4
	s_delay_alu instid0(SALU_CYCLE_1)
	s_and_saveexec_b32 s3, s2
	s_cbranch_execz .LBB145_6
; %bb.1:
	v_cmp_gt_i32_e32 vcc_lo, s20, v0
	s_and_b32 exec_lo, exec_lo, vcc_lo
	s_cbranch_execz .LBB145_6
; %bb.2:
	s_clause 0x2
	s_load_b256 s[4:11], s[0:1], 0x3c
	s_load_b256 s[36:43], s[0:1], 0x60
	s_load_b128 s[28:31], s[0:1], 0x80
	s_load_b32 s21, s[16:17], 0x0
	s_clause 0x3
	s_load_b32 s12, s[0:1], 0x5c
	s_load_b64 s[2:3], s[0:1], 0x0
	s_load_b32 s22, s[0:1], 0x38
	s_load_b64 s[24:25], s[0:1], 0x10
	s_waitcnt lgkmcnt(0)
	v_mul_hi_u32 v2, s4, v1
	v_mul_hi_u32 v5, s7, v3
	v_mul_hi_u32 v7, s10, v4
	v_mul_lo_u32 v9, v4, s42
	v_mul_lo_u32 v10, v3, s41
	;; [unrolled: 1-line block ×3, first 2 shown]
	v_mov_b32_e32 v6, 0
	v_mul_lo_u32 v12, v4, s38
	v_add_nc_u32_e32 v2, v1, v2
	v_add_nc_u32_e32 v5, v3, v5
	s_delay_alu instid0(VALU_DEP_4) | instskip(SKIP_1) | instid1(VALU_DEP_4)
	v_dual_mov_b32 v8, v6 :: v_dual_add_nc_u32 v7, v4, v7
	v_mul_lo_u32 v13, v3, s37
	v_lshrrev_b32_e32 v2, s5, v2
	s_delay_alu instid0(VALU_DEP_4) | instskip(NEXT) | instid1(VALU_DEP_4)
	v_lshrrev_b32_e32 v15, s8, v5
	v_lshrrev_b32_e32 v16, s11, v7
	v_add3_u32 v5, v10, v11, v9
	v_mul_lo_u32 v14, v1, s36
	v_mul_lo_u32 v9, v2, s6
	;; [unrolled: 1-line block ×4, first 2 shown]
	v_lshlrev_b64 v[5:6], 2, v[5:6]
	s_load_b512 s[4:19], s[0:1], 0x90
	s_cmp_lg_u64 s[2:3], 0
	v_mul_lo_u32 v2, s39, v0
	v_add3_u32 v7, v13, v14, v12
	v_sub_nc_u32_e32 v1, v1, v9
	v_sub_nc_u32_e32 v3, v3, v10
	;; [unrolled: 1-line block ×3, first 2 shown]
	v_add_co_u32 v9, vcc_lo, s2, v5
	v_add_co_ci_u32_e32 v5, vcc_lo, s3, v6, vcc_lo
	v_lshlrev_b64 v[7:8], 2, v[7:8]
	s_delay_alu instid0(VALU_DEP_4)
	v_mul_lo_u32 v10, v4, s30
	v_mul_lo_u32 v3, v3, s29
	;; [unrolled: 1-line block ×3, first 2 shown]
	s_cselect_b32 vcc_lo, -1, 0
	s_mul_i32 s2, s21, s23
	v_cndmask_b32_e32 v5, 0, v5, vcc_lo
	v_cndmask_b32_e32 v4, 0, v9, vcc_lo
	v_add_co_u32 v6, vcc_lo, s24, v7
	v_add_co_ci_u32_e32 v7, vcc_lo, s25, v8, vcc_lo
	s_delay_alu instid0(VALU_DEP_3)
	v_cmp_ne_u64_e32 vcc_lo, 0, v[4:5]
	v_add3_u32 v8, v3, v10, v1
	s_mov_b32 s3, 0
	s_mul_i32 s21, s2, s39
	s_sub_i32 s22, 0, s22
	s_branch .LBB145_4
.LBB145_3:                              ;   in Loop: Header=BB145_4 Depth=1
	s_or_b32 exec_lo, exec_lo, s1
	v_mul_hi_u32 v3, s26, v0
	v_add_nc_u32_e32 v2, s21, v2
	s_delay_alu instid0(VALU_DEP_2) | instskip(NEXT) | instid1(VALU_DEP_1)
	v_add_nc_u32_e32 v3, v0, v3
	v_lshrrev_b32_e32 v3, s27, v3
	s_waitcnt vmcnt(0)
	s_delay_alu instid0(VALU_DEP_1) | instskip(NEXT) | instid1(VALU_DEP_1)
	v_mad_u64_u32 v[9:10], null, s22, v3, v[0:1]
	v_mul_lo_u32 v3, v9, s43
	s_delay_alu instid0(VALU_DEP_1) | instskip(NEXT) | instid1(VALU_DEP_1)
	v_add_co_u32 v9, s0, v3, v8
	v_add_co_ci_u32_e64 v10, null, 0, 0, s0
	s_delay_alu instid0(VALU_DEP_1) | instskip(SKIP_1) | instid1(VALU_DEP_1)
	v_lshlrev_b64 v[9:10], 2, v[9:10]
	s_waitcnt lgkmcnt(0)
	v_add_co_u32 v11, s0, s4, v9
	s_delay_alu instid0(VALU_DEP_1) | instskip(SKIP_1) | instid1(VALU_DEP_1)
	v_add_co_ci_u32_e64 v12, s0, s5, v10, s0
	v_add_co_u32 v13, s0, s6, v9
	v_add_co_ci_u32_e64 v14, s0, s7, v10, s0
	global_load_b32 v3, v[11:12], off
	v_add_co_u32 v11, s0, s8, v9
	s_delay_alu instid0(VALU_DEP_1) | instskip(SKIP_2) | instid1(VALU_DEP_1)
	v_add_co_ci_u32_e64 v12, s0, s9, v10, s0
	global_load_b32 v15, v[13:14], off
	v_add_co_u32 v13, s0, s10, v9
	v_add_co_ci_u32_e64 v14, s0, s11, v10, s0
	global_load_b32 v16, v[11:12], off
	v_add_co_u32 v11, s0, s12, v9
	s_delay_alu instid0(VALU_DEP_1) | instskip(SKIP_2) | instid1(VALU_DEP_1)
	v_add_co_ci_u32_e64 v12, s0, s13, v10, s0
	global_load_b32 v17, v[13:14], off
	;; [unrolled: 7-line block ×3, first 2 shown]
	v_add_co_u32 v9, s0, s18, v9
	v_add_co_ci_u32_e64 v10, s0, s19, v10, s0
	global_load_b32 v11, v[11:12], off
	global_load_b32 v12, v[9:10], off
	s_waitcnt vmcnt(7)
	v_mul_f32_e32 v1, v1, v3
	s_waitcnt vmcnt(6)
	s_delay_alu instid0(VALU_DEP_1) | instskip(SKIP_1) | instid1(VALU_DEP_1)
	v_mul_f32_e32 v1, v1, v15
	s_waitcnt vmcnt(5)
	v_mul_f32_e32 v1, v1, v16
	s_waitcnt vmcnt(4)
	s_delay_alu instid0(VALU_DEP_1) | instskip(SKIP_1) | instid1(VALU_DEP_1)
	v_mul_f32_e32 v1, v1, v17
	s_waitcnt vmcnt(3)
	v_mul_f32_e32 v3, v1, v18
	v_ashrrev_i32_e32 v1, 31, v0
	s_waitcnt vmcnt(2)
	s_delay_alu instid0(VALU_DEP_2) | instskip(NEXT) | instid1(VALU_DEP_2)
	v_mul_f32_e32 v3, v3, v13
	v_lshlrev_b64 v[9:10], 2, v[0:1]
	s_waitcnt vmcnt(1)
	s_delay_alu instid0(VALU_DEP_2) | instskip(NEXT) | instid1(VALU_DEP_1)
	v_dual_mul_f32 v1, v3, v11 :: v_dual_add_nc_u32 v0, s2, v0
	v_cmp_le_i32_e64 s0, s20, v0
	s_delay_alu instid0(VALU_DEP_3) | instskip(NEXT) | instid1(VALU_DEP_1)
	v_add_co_u32 v9, s1, v6, v9
	v_add_co_ci_u32_e64 v10, s1, v7, v10, s1
	s_waitcnt vmcnt(0)
	v_mul_f32_e32 v1, v1, v12
	s_or_b32 s3, s0, s3
	global_store_b32 v[9:10], v1, off
	s_and_not1_b32 exec_lo, exec_lo, s3
	s_cbranch_execz .LBB145_6
.LBB145_4:                              ; =>This Inner Loop Header: Depth=1
	v_mov_b32_e32 v1, 0
	s_and_saveexec_b32 s1, vcc_lo
	s_cbranch_execz .LBB145_3
; %bb.5:                                ;   in Loop: Header=BB145_4 Depth=1
	v_ashrrev_i32_e32 v3, 31, v2
	s_delay_alu instid0(VALU_DEP_1) | instskip(NEXT) | instid1(VALU_DEP_1)
	v_lshlrev_b64 v[9:10], 2, v[2:3]
	v_add_co_u32 v9, s0, v4, v9
	s_delay_alu instid0(VALU_DEP_1)
	v_add_co_ci_u32_e64 v10, s0, v5, v10, s0
	global_load_b32 v1, v[9:10], off
	s_branch .LBB145_3
.LBB145_6:
	s_nop 0
	s_sendmsg sendmsg(MSG_DEALLOC_VGPRS)
	s_endpgm
	.section	.rodata,"a",@progbits
	.p2align	6, 0x0
	.amdhsa_kernel _ZL11k_bin_bcastIXadL_ZL6op_mulffEEfffJPKfS1_S1_S1_S1_S1_S1_S1_EEvPKT0_PKT1_PT2_iii15HIP_vector_typeIjLj3EESB_SB_SB_SB_iiiiiiiiiiiDpT3_
		.amdhsa_group_segment_fixed_size 0
		.amdhsa_private_segment_fixed_size 0
		.amdhsa_kernarg_size 464
		.amdhsa_user_sgpr_count 13
		.amdhsa_user_sgpr_dispatch_ptr 0
		.amdhsa_user_sgpr_queue_ptr 0
		.amdhsa_user_sgpr_kernarg_segment_ptr 1
		.amdhsa_user_sgpr_dispatch_id 0
		.amdhsa_user_sgpr_private_segment_size 0
		.amdhsa_wavefront_size32 1
		.amdhsa_uses_dynamic_stack 0
		.amdhsa_enable_private_segment 0
		.amdhsa_system_sgpr_workgroup_id_x 1
		.amdhsa_system_sgpr_workgroup_id_y 1
		.amdhsa_system_sgpr_workgroup_id_z 1
		.amdhsa_system_sgpr_workgroup_info 0
		.amdhsa_system_vgpr_workitem_id 2
		.amdhsa_next_free_vgpr 19
		.amdhsa_next_free_sgpr 44
		.amdhsa_reserve_vcc 1
		.amdhsa_float_round_mode_32 0
		.amdhsa_float_round_mode_16_64 0
		.amdhsa_float_denorm_mode_32 3
		.amdhsa_float_denorm_mode_16_64 3
		.amdhsa_dx10_clamp 1
		.amdhsa_ieee_mode 1
		.amdhsa_fp16_overflow 0
		.amdhsa_workgroup_processor_mode 1
		.amdhsa_memory_ordered 1
		.amdhsa_forward_progress 0
		.amdhsa_shared_vgpr_count 0
		.amdhsa_exception_fp_ieee_invalid_op 0
		.amdhsa_exception_fp_denorm_src 0
		.amdhsa_exception_fp_ieee_div_zero 0
		.amdhsa_exception_fp_ieee_overflow 0
		.amdhsa_exception_fp_ieee_underflow 0
		.amdhsa_exception_fp_ieee_inexact 0
		.amdhsa_exception_int_div_zero 0
	.end_amdhsa_kernel
	.section	.text._ZL11k_bin_bcastIXadL_ZL6op_mulffEEfffJPKfS1_S1_S1_S1_S1_S1_S1_EEvPKT0_PKT1_PT2_iii15HIP_vector_typeIjLj3EESB_SB_SB_SB_iiiiiiiiiiiDpT3_,"axG",@progbits,_ZL11k_bin_bcastIXadL_ZL6op_mulffEEfffJPKfS1_S1_S1_S1_S1_S1_S1_EEvPKT0_PKT1_PT2_iii15HIP_vector_typeIjLj3EESB_SB_SB_SB_iiiiiiiiiiiDpT3_,comdat
.Lfunc_end145:
	.size	_ZL11k_bin_bcastIXadL_ZL6op_mulffEEfffJPKfS1_S1_S1_S1_S1_S1_S1_EEvPKT0_PKT1_PT2_iii15HIP_vector_typeIjLj3EESB_SB_SB_SB_iiiiiiiiiiiDpT3_, .Lfunc_end145-_ZL11k_bin_bcastIXadL_ZL6op_mulffEEfffJPKfS1_S1_S1_S1_S1_S1_S1_EEvPKT0_PKT1_PT2_iii15HIP_vector_typeIjLj3EESB_SB_SB_SB_iiiiiiiiiiiDpT3_
                                        ; -- End function
	.section	.AMDGPU.csdata,"",@progbits
; Kernel info:
; codeLenInByte = 1112
; NumSgprs: 46
; NumVgprs: 19
; ScratchSize: 0
; MemoryBound: 0
; FloatMode: 240
; IeeeMode: 1
; LDSByteSize: 0 bytes/workgroup (compile time only)
; SGPRBlocks: 5
; VGPRBlocks: 2
; NumSGPRsForWavesPerEU: 46
; NumVGPRsForWavesPerEU: 19
; Occupancy: 16
; WaveLimiterHint : 1
; COMPUTE_PGM_RSRC2:SCRATCH_EN: 0
; COMPUTE_PGM_RSRC2:USER_SGPR: 13
; COMPUTE_PGM_RSRC2:TRAP_HANDLER: 0
; COMPUTE_PGM_RSRC2:TGID_X_EN: 1
; COMPUTE_PGM_RSRC2:TGID_Y_EN: 1
; COMPUTE_PGM_RSRC2:TGID_Z_EN: 1
; COMPUTE_PGM_RSRC2:TIDIG_COMP_CNT: 2
	.section	.text._ZL19k_bin_bcast_unravelIXadL_ZL6op_mulffEE6__halfS0_S0_JPKS0_S2_S2_S2_S2_S2_S2_S2_EEvPKT0_PKT1_PT2_15HIP_vector_typeIjLj3EESC_SC_jSC_SC_SC_SC_SC_SC_iiiiiiiiiiiDpT3_,"axG",@progbits,_ZL19k_bin_bcast_unravelIXadL_ZL6op_mulffEE6__halfS0_S0_JPKS0_S2_S2_S2_S2_S2_S2_S2_EEvPKT0_PKT1_PT2_15HIP_vector_typeIjLj3EESC_SC_jSC_SC_SC_SC_SC_SC_iiiiiiiiiiiDpT3_,comdat
	.globl	_ZL19k_bin_bcast_unravelIXadL_ZL6op_mulffEE6__halfS0_S0_JPKS0_S2_S2_S2_S2_S2_S2_S2_EEvPKT0_PKT1_PT2_15HIP_vector_typeIjLj3EESC_SC_jSC_SC_SC_SC_SC_SC_iiiiiiiiiiiDpT3_ ; -- Begin function _ZL19k_bin_bcast_unravelIXadL_ZL6op_mulffEE6__halfS0_S0_JPKS0_S2_S2_S2_S2_S2_S2_S2_EEvPKT0_PKT1_PT2_15HIP_vector_typeIjLj3EESC_SC_jSC_SC_SC_SC_SC_SC_iiiiiiiiiiiDpT3_
	.p2align	8
	.type	_ZL19k_bin_bcast_unravelIXadL_ZL6op_mulffEE6__halfS0_S0_JPKS0_S2_S2_S2_S2_S2_S2_S2_EEvPKT0_PKT1_PT2_15HIP_vector_typeIjLj3EESC_SC_jSC_SC_SC_SC_SC_SC_iiiiiiiiiiiDpT3_,@function
_ZL19k_bin_bcast_unravelIXadL_ZL6op_mulffEE6__halfS0_S0_JPKS0_S2_S2_S2_S2_S2_S2_S2_EEvPKT0_PKT1_PT2_15HIP_vector_typeIjLj3EESC_SC_jSC_SC_SC_SC_SC_SC_iiiiiiiiiiiDpT3_: ; @_ZL19k_bin_bcast_unravelIXadL_ZL6op_mulffEE6__halfS0_S0_JPKS0_S2_S2_S2_S2_S2_S2_S2_EEvPKT0_PKT1_PT2_15HIP_vector_typeIjLj3EESC_SC_jSC_SC_SC_SC_SC_SC_iiiiiiiiiiiDpT3_
; %bb.0:
	s_clause 0x1
	s_load_b32 s2, s[0:1], 0x104
	s_load_b256 s[4:11], s[0:1], 0x38
	s_waitcnt lgkmcnt(0)
	s_and_b32 s2, s2, 0xffff
	s_delay_alu instid0(SALU_CYCLE_1) | instskip(SKIP_3) | instid1(VALU_DEP_1)
	v_mad_u64_u32 v[2:3], null, s15, s2, v[0:1]
	s_clause 0x1
	s_load_b128 s[12:15], s[0:1], 0x18
	s_load_b32 s2, s[0:1], 0x2c
	v_mul_hi_u32 v0, v2, s6
	s_delay_alu instid0(VALU_DEP_1) | instskip(NEXT) | instid1(VALU_DEP_1)
	v_add_nc_u32_e32 v0, v2, v0
	v_lshrrev_b32_e32 v1, s7, v0
	s_delay_alu instid0(VALU_DEP_1) | instskip(NEXT) | instid1(VALU_DEP_1)
	v_mul_lo_u32 v0, v1, s8
	v_sub_nc_u32_e32 v0, v2, v0
	s_delay_alu instid0(VALU_DEP_1) | instskip(NEXT) | instid1(VALU_DEP_1)
	v_mul_hi_u32 v2, v0, s9
	v_add_nc_u32_e32 v2, v0, v2
	s_delay_alu instid0(VALU_DEP_1) | instskip(NEXT) | instid1(VALU_DEP_1)
	v_lshrrev_b32_e32 v2, s10, v2
	v_mul_lo_u32 v3, v2, s11
	v_cmp_gt_u32_e64 s3, s4, v2
	v_cmp_gt_u32_e64 s4, s5, v1
	s_delay_alu instid0(VALU_DEP_3) | instskip(SKIP_1) | instid1(VALU_DEP_1)
	v_sub_nc_u32_e32 v0, v0, v3
	s_waitcnt lgkmcnt(0)
	v_mul_hi_u32 v3, v0, s12
	s_delay_alu instid0(VALU_DEP_1) | instskip(NEXT) | instid1(VALU_DEP_1)
	v_add_nc_u32_e32 v3, v0, v3
	v_lshrrev_b32_e32 v3, s13, v3
	s_delay_alu instid0(VALU_DEP_1) | instskip(SKIP_1) | instid1(VALU_DEP_2)
	v_mul_lo_u32 v4, v3, s14
	v_cmp_gt_u32_e64 s2, s2, v3
	v_sub_nc_u32_e32 v0, v0, v4
	s_delay_alu instid0(VALU_DEP_1) | instskip(NEXT) | instid1(VALU_DEP_3)
	v_cmp_gt_u32_e32 vcc_lo, s14, v0
	s_and_b32 s2, vcc_lo, s2
	s_delay_alu instid0(SALU_CYCLE_1) | instskip(NEXT) | instid1(SALU_CYCLE_1)
	s_and_b32 s2, s2, s3
	s_and_b32 s2, s4, s2
	s_delay_alu instid0(SALU_CYCLE_1)
	s_and_saveexec_b32 s3, s2
	s_cbranch_execz .LBB146_5
; %bb.1:
	s_clause 0x4
	s_load_b64 s[2:3], s[0:1], 0x0
	s_load_b128 s[12:15], s[0:1], 0xa8
	s_load_b256 s[20:27], s[0:1], 0x88
	s_load_b128 s[16:19], s[0:1], 0x78
	s_load_b256 s[4:11], s[0:1], 0x58
	s_waitcnt lgkmcnt(0)
	s_cmp_eq_u64 s[2:3], 0
	s_cbranch_scc1 .LBB146_3
; %bb.2:
	v_mul_lo_u32 v4, v1, s26
	v_mul_lo_u32 v6, v2, s25
	;; [unrolled: 1-line block ×3, first 2 shown]
	v_mov_b32_e32 v5, 0
	s_delay_alu instid0(VALU_DEP_2) | instskip(NEXT) | instid1(VALU_DEP_1)
	v_add3_u32 v4, v6, v4, v7
	v_lshlrev_b64 v[6:7], 1, v[4:5]
	v_mul_lo_u32 v4, v0, s23
	s_delay_alu instid0(VALU_DEP_2) | instskip(NEXT) | instid1(VALU_DEP_3)
	v_add_co_u32 v6, vcc_lo, s2, v6
	v_add_co_ci_u32_e32 v7, vcc_lo, s3, v7, vcc_lo
	s_delay_alu instid0(VALU_DEP_3) | instskip(NEXT) | instid1(VALU_DEP_1)
	v_lshlrev_b64 v[4:5], 1, v[4:5]
	v_add_co_u32 v4, vcc_lo, v6, v4
	s_delay_alu instid0(VALU_DEP_2)
	v_add_co_ci_u32_e32 v5, vcc_lo, v7, v5, vcc_lo
	global_load_u16 v4, v[4:5], off
	s_waitcnt vmcnt(0)
	v_cvt_f32_f16_e32 v4, v4
	s_branch .LBB146_4
.LBB146_3:
	v_mov_b32_e32 v4, 0
.LBB146_4:
	v_mul_hi_u32 v5, s17, v1
	v_mul_hi_u32 v6, s10, v2
	;; [unrolled: 1-line block ×4, first 2 shown]
	s_delay_alu instid0(VALU_DEP_4) | instskip(NEXT) | instid1(VALU_DEP_4)
	v_add_nc_u32_e32 v5, v1, v5
	v_add_nc_u32_e32 v6, v2, v6
	s_delay_alu instid0(VALU_DEP_4) | instskip(NEXT) | instid1(VALU_DEP_4)
	v_add_nc_u32_e32 v7, v3, v7
	v_add_nc_u32_e32 v8, v0, v8
	s_delay_alu instid0(VALU_DEP_4) | instskip(NEXT) | instid1(VALU_DEP_4)
	v_lshrrev_b32_e32 v5, s18, v5
	v_lshrrev_b32_e32 v6, s11, v6
	s_delay_alu instid0(VALU_DEP_4) | instskip(NEXT) | instid1(VALU_DEP_4)
	v_lshrrev_b32_e32 v7, s8, v7
	v_lshrrev_b32_e32 v8, s5, v8
	s_delay_alu instid0(VALU_DEP_4) | instskip(NEXT) | instid1(VALU_DEP_4)
	v_mul_lo_u32 v5, v5, s19
	v_mul_lo_u32 v6, v6, s16
	s_delay_alu instid0(VALU_DEP_4) | instskip(NEXT) | instid1(VALU_DEP_4)
	v_mul_lo_u32 v7, v7, s9
	v_mul_lo_u32 v8, v8, s6
	s_delay_alu instid0(VALU_DEP_4) | instskip(NEXT) | instid1(VALU_DEP_4)
	v_sub_nc_u32_e32 v5, v1, v5
	v_sub_nc_u32_e32 v6, v2, v6
	s_delay_alu instid0(VALU_DEP_4) | instskip(NEXT) | instid1(VALU_DEP_4)
	v_sub_nc_u32_e32 v7, v3, v7
	v_sub_nc_u32_e32 v8, v0, v8
	v_mul_lo_u32 v1, v1, s22
	v_mul_lo_u32 v5, v5, s14
	;; [unrolled: 1-line block ×5, first 2 shown]
	s_clause 0x1
	s_load_b512 s[4:19], s[0:1], 0xb8
	s_load_b64 s[0:1], s[0:1], 0x10
	v_mul_lo_u32 v2, v2, s21
	s_delay_alu instid0(VALU_DEP_3) | instskip(NEXT) | instid1(VALU_DEP_3)
	v_add3_u32 v5, v6, v5, v7
	v_ashrrev_i32_e32 v6, 31, v8
	s_delay_alu instid0(VALU_DEP_2) | instskip(SKIP_1) | instid1(VALU_DEP_2)
	v_ashrrev_i32_e32 v7, 31, v5
	v_add_co_u32 v5, vcc_lo, v8, v5
	v_add_co_ci_u32_e32 v6, vcc_lo, v6, v7, vcc_lo
	s_delay_alu instid0(VALU_DEP_1) | instskip(SKIP_1) | instid1(VALU_DEP_1)
	v_lshlrev_b64 v[5:6], 1, v[5:6]
	s_waitcnt lgkmcnt(0)
	v_add_co_u32 v7, vcc_lo, s4, v5
	s_delay_alu instid0(VALU_DEP_2)
	v_add_co_ci_u32_e32 v8, vcc_lo, s5, v6, vcc_lo
	v_add_co_u32 v9, vcc_lo, s6, v5
	v_add_co_ci_u32_e32 v10, vcc_lo, s7, v6, vcc_lo
	global_load_u16 v11, v[7:8], off
	v_add_co_u32 v7, vcc_lo, s8, v5
	v_add_co_ci_u32_e32 v8, vcc_lo, s9, v6, vcc_lo
	global_load_u16 v12, v[9:10], off
	v_add_co_u32 v9, vcc_lo, s10, v5
	global_load_u16 v13, v[7:8], off
	v_add_co_ci_u32_e32 v10, vcc_lo, s11, v6, vcc_lo
	v_add_co_u32 v7, vcc_lo, s12, v5
	v_add_co_ci_u32_e32 v8, vcc_lo, s13, v6, vcc_lo
	global_load_u16 v14, v[9:10], off
	v_add_co_u32 v9, vcc_lo, s14, v5
	v_add_co_ci_u32_e32 v10, vcc_lo, s15, v6, vcc_lo
	global_load_u16 v15, v[7:8], off
	;; [unrolled: 3-line block ×3, first 2 shown]
	global_load_u16 v7, v[7:8], off
	v_add_co_u32 v5, vcc_lo, s18, v5
	v_add_co_ci_u32_e32 v6, vcc_lo, s19, v6, vcc_lo
	global_load_u16 v5, v[5:6], off
	s_waitcnt vmcnt(7)
	v_cvt_f32_f16_e32 v6, v11
	s_waitcnt vmcnt(6)
	v_cvt_f32_f16_e32 v8, v12
	s_delay_alu instid0(VALU_DEP_2) | instskip(SKIP_2) | instid1(VALU_DEP_2)
	v_mul_f32_e32 v4, v4, v6
	s_waitcnt vmcnt(5)
	v_cvt_f32_f16_e32 v6, v13
	v_mul_f32_e32 v4, v4, v8
	s_waitcnt vmcnt(4)
	v_cvt_f32_f16_e32 v8, v14
	s_delay_alu instid0(VALU_DEP_2)
	v_mul_f32_e32 v4, v4, v6
	v_mul_lo_u32 v6, v3, s20
	v_mov_b32_e32 v3, 0
	s_waitcnt vmcnt(3)
	v_cvt_f32_f16_e32 v10, v15
	v_mul_f32_e32 v4, v4, v8
	s_delay_alu instid0(VALU_DEP_4)
	v_add3_u32 v2, v2, v1, v6
	v_mov_b32_e32 v1, v3
	s_waitcnt vmcnt(2)
	v_cvt_f32_f16_e32 v8, v9
	v_mul_f32_e32 v4, v4, v10
	s_waitcnt vmcnt(1)
	v_cvt_f32_f16_e32 v6, v7
	v_lshlrev_b64 v[2:3], 1, v[2:3]
	v_lshlrev_b64 v[0:1], 1, v[0:1]
	v_mul_f32_e32 v4, v4, v8
	s_delay_alu instid0(VALU_DEP_3) | instskip(NEXT) | instid1(VALU_DEP_2)
	v_add_co_u32 v2, vcc_lo, s0, v2
	v_mul_f32_e32 v4, v4, v6
	v_add_co_ci_u32_e32 v3, vcc_lo, s1, v3, vcc_lo
	s_delay_alu instid0(VALU_DEP_3) | instskip(SKIP_1) | instid1(VALU_DEP_3)
	v_add_co_u32 v0, vcc_lo, v2, v0
	s_waitcnt vmcnt(0)
	v_fma_mixlo_f16 v4, v4, v5, 0 op_sel_hi:[0,1,0]
	s_delay_alu instid0(VALU_DEP_3)
	v_add_co_ci_u32_e32 v1, vcc_lo, v3, v1, vcc_lo
	global_store_b16 v[0:1], v4, off
.LBB146_5:
	s_nop 0
	s_sendmsg sendmsg(MSG_DEALLOC_VGPRS)
	s_endpgm
	.section	.rodata,"a",@progbits
	.p2align	6, 0x0
	.amdhsa_kernel _ZL19k_bin_bcast_unravelIXadL_ZL6op_mulffEE6__halfS0_S0_JPKS0_S2_S2_S2_S2_S2_S2_S2_EEvPKT0_PKT1_PT2_15HIP_vector_typeIjLj3EESC_SC_jSC_SC_SC_SC_SC_SC_iiiiiiiiiiiDpT3_
		.amdhsa_group_segment_fixed_size 0
		.amdhsa_private_segment_fixed_size 0
		.amdhsa_kernarg_size 504
		.amdhsa_user_sgpr_count 15
		.amdhsa_user_sgpr_dispatch_ptr 0
		.amdhsa_user_sgpr_queue_ptr 0
		.amdhsa_user_sgpr_kernarg_segment_ptr 1
		.amdhsa_user_sgpr_dispatch_id 0
		.amdhsa_user_sgpr_private_segment_size 0
		.amdhsa_wavefront_size32 1
		.amdhsa_uses_dynamic_stack 0
		.amdhsa_enable_private_segment 0
		.amdhsa_system_sgpr_workgroup_id_x 1
		.amdhsa_system_sgpr_workgroup_id_y 0
		.amdhsa_system_sgpr_workgroup_id_z 0
		.amdhsa_system_sgpr_workgroup_info 0
		.amdhsa_system_vgpr_workitem_id 0
		.amdhsa_next_free_vgpr 16
		.amdhsa_next_free_sgpr 28
		.amdhsa_reserve_vcc 1
		.amdhsa_float_round_mode_32 0
		.amdhsa_float_round_mode_16_64 0
		.amdhsa_float_denorm_mode_32 3
		.amdhsa_float_denorm_mode_16_64 3
		.amdhsa_dx10_clamp 1
		.amdhsa_ieee_mode 1
		.amdhsa_fp16_overflow 0
		.amdhsa_workgroup_processor_mode 1
		.amdhsa_memory_ordered 1
		.amdhsa_forward_progress 0
		.amdhsa_shared_vgpr_count 0
		.amdhsa_exception_fp_ieee_invalid_op 0
		.amdhsa_exception_fp_denorm_src 0
		.amdhsa_exception_fp_ieee_div_zero 0
		.amdhsa_exception_fp_ieee_overflow 0
		.amdhsa_exception_fp_ieee_underflow 0
		.amdhsa_exception_fp_ieee_inexact 0
		.amdhsa_exception_int_div_zero 0
	.end_amdhsa_kernel
	.section	.text._ZL19k_bin_bcast_unravelIXadL_ZL6op_mulffEE6__halfS0_S0_JPKS0_S2_S2_S2_S2_S2_S2_S2_EEvPKT0_PKT1_PT2_15HIP_vector_typeIjLj3EESC_SC_jSC_SC_SC_SC_SC_SC_iiiiiiiiiiiDpT3_,"axG",@progbits,_ZL19k_bin_bcast_unravelIXadL_ZL6op_mulffEE6__halfS0_S0_JPKS0_S2_S2_S2_S2_S2_S2_S2_EEvPKT0_PKT1_PT2_15HIP_vector_typeIjLj3EESC_SC_jSC_SC_SC_SC_SC_SC_iiiiiiiiiiiDpT3_,comdat
.Lfunc_end146:
	.size	_ZL19k_bin_bcast_unravelIXadL_ZL6op_mulffEE6__halfS0_S0_JPKS0_S2_S2_S2_S2_S2_S2_S2_EEvPKT0_PKT1_PT2_15HIP_vector_typeIjLj3EESC_SC_jSC_SC_SC_SC_SC_SC_iiiiiiiiiiiDpT3_, .Lfunc_end146-_ZL19k_bin_bcast_unravelIXadL_ZL6op_mulffEE6__halfS0_S0_JPKS0_S2_S2_S2_S2_S2_S2_S2_EEvPKT0_PKT1_PT2_15HIP_vector_typeIjLj3EESC_SC_jSC_SC_SC_SC_SC_SC_iiiiiiiiiiiDpT3_
                                        ; -- End function
	.section	.AMDGPU.csdata,"",@progbits
; Kernel info:
; codeLenInByte = 1052
; NumSgprs: 30
; NumVgprs: 16
; ScratchSize: 0
; MemoryBound: 0
; FloatMode: 240
; IeeeMode: 1
; LDSByteSize: 0 bytes/workgroup (compile time only)
; SGPRBlocks: 3
; VGPRBlocks: 1
; NumSGPRsForWavesPerEU: 30
; NumVGPRsForWavesPerEU: 16
; Occupancy: 16
; WaveLimiterHint : 1
; COMPUTE_PGM_RSRC2:SCRATCH_EN: 0
; COMPUTE_PGM_RSRC2:USER_SGPR: 15
; COMPUTE_PGM_RSRC2:TRAP_HANDLER: 0
; COMPUTE_PGM_RSRC2:TGID_X_EN: 1
; COMPUTE_PGM_RSRC2:TGID_Y_EN: 0
; COMPUTE_PGM_RSRC2:TGID_Z_EN: 0
; COMPUTE_PGM_RSRC2:TIDIG_COMP_CNT: 0
	.section	.text._ZL11k_bin_bcastIXadL_ZL6op_mulffEE6__halfS0_S0_JPKS0_S2_S2_S2_S2_S2_S2_S2_EEvPKT0_PKT1_PT2_iii15HIP_vector_typeIjLj3EESC_SC_SC_SC_iiiiiiiiiiiDpT3_,"axG",@progbits,_ZL11k_bin_bcastIXadL_ZL6op_mulffEE6__halfS0_S0_JPKS0_S2_S2_S2_S2_S2_S2_S2_EEvPKT0_PKT1_PT2_iii15HIP_vector_typeIjLj3EESC_SC_SC_SC_iiiiiiiiiiiDpT3_,comdat
	.globl	_ZL11k_bin_bcastIXadL_ZL6op_mulffEE6__halfS0_S0_JPKS0_S2_S2_S2_S2_S2_S2_S2_EEvPKT0_PKT1_PT2_iii15HIP_vector_typeIjLj3EESC_SC_SC_SC_iiiiiiiiiiiDpT3_ ; -- Begin function _ZL11k_bin_bcastIXadL_ZL6op_mulffEE6__halfS0_S0_JPKS0_S2_S2_S2_S2_S2_S2_S2_EEvPKT0_PKT1_PT2_iii15HIP_vector_typeIjLj3EESC_SC_SC_SC_iiiiiiiiiiiDpT3_
	.p2align	8
	.type	_ZL11k_bin_bcastIXadL_ZL6op_mulffEE6__halfS0_S0_JPKS0_S2_S2_S2_S2_S2_S2_S2_EEvPKT0_PKT1_PT2_iii15HIP_vector_typeIjLj3EESC_SC_SC_SC_iiiiiiiiiiiDpT3_,@function
_ZL11k_bin_bcastIXadL_ZL6op_mulffEE6__halfS0_S0_JPKS0_S2_S2_S2_S2_S2_S2_S2_EEvPKT0_PKT1_PT2_iii15HIP_vector_typeIjLj3EESC_SC_SC_SC_iiiiiiiiiiiDpT3_: ; @_ZL11k_bin_bcastIXadL_ZL6op_mulffEE6__halfS0_S0_JPKS0_S2_S2_S2_S2_S2_S2_S2_EEvPKT0_PKT1_PT2_iii15HIP_vector_typeIjLj3EESC_SC_SC_SC_iiiiiiiiiiiDpT3_
; %bb.0:
	s_clause 0x1
	s_load_b64 s[2:3], s[0:1], 0xdc
	s_load_b256 s[20:27], s[0:1], 0x18
	v_bfe_u32 v1, v0, 20, 10
	s_add_u32 s16, s0, 0xd0
	s_addc_u32 s17, s1, 0
	s_waitcnt lgkmcnt(0)
	s_and_b32 s3, s3, 0xffff
	s_delay_alu instid0(SALU_CYCLE_1) | instskip(SKIP_3) | instid1(VALU_DEP_3)
	v_mad_u64_u32 v[4:5], null, s15, s3, v[1:2]
	v_and_b32_e32 v2, 0x3ff, v0
	v_bfe_u32 v5, v0, 10, 10
	s_lshr_b32 s3, s2, 16
	v_mul_hi_u32 v1, v4, s23
	s_and_b32 s23, s2, 0xffff
	s_delay_alu instid0(VALU_DEP_1) | instskip(NEXT) | instid1(VALU_DEP_1)
	v_add_nc_u32_e32 v1, v4, v1
	v_lshrrev_b32_e32 v3, s24, v1
	s_delay_alu instid0(VALU_DEP_1) | instskip(SKIP_1) | instid1(VALU_DEP_2)
	v_mul_lo_u32 v6, v3, s25
	v_mad_u64_u32 v[0:1], null, s13, s23, v[2:3]
	v_mad_u64_u32 v[1:2], null, s14, s3, v[5:6]
	v_sub_nc_u32_e32 v4, v4, v6
	s_delay_alu instid0(VALU_DEP_3) | instskip(SKIP_1) | instid1(VALU_DEP_3)
	v_cmp_gt_u32_e32 vcc_lo, s20, v0
	v_cmp_gt_u32_e64 s3, s22, v3
	v_cmp_gt_u32_e64 s4, s25, v4
	;; [unrolled: 1-line block ×3, first 2 shown]
	s_delay_alu instid0(VALU_DEP_1)
	s_and_b32 s2, vcc_lo, s2
	s_delay_alu instid0(VALU_DEP_3) | instid1(SALU_CYCLE_1)
	s_and_b32 s2, s2, s3
	s_delay_alu instid0(VALU_DEP_2) | instid1(SALU_CYCLE_1)
	s_and_b32 s2, s2, s4
	s_delay_alu instid0(SALU_CYCLE_1)
	s_and_saveexec_b32 s3, s2
	s_cbranch_execz .LBB147_6
; %bb.1:
	v_cmp_gt_i32_e32 vcc_lo, s20, v0
	s_and_b32 exec_lo, exec_lo, vcc_lo
	s_cbranch_execz .LBB147_6
; %bb.2:
	s_clause 0x2
	s_load_b256 s[4:11], s[0:1], 0x3c
	s_load_b256 s[36:43], s[0:1], 0x60
	s_load_b128 s[28:31], s[0:1], 0x80
	s_load_b32 s21, s[16:17], 0x0
	s_clause 0x3
	s_load_b32 s12, s[0:1], 0x5c
	s_load_b64 s[2:3], s[0:1], 0x0
	s_load_b32 s22, s[0:1], 0x38
	s_load_b64 s[24:25], s[0:1], 0x10
	s_waitcnt lgkmcnt(0)
	v_mul_hi_u32 v2, s4, v1
	v_mul_hi_u32 v5, s7, v3
	;; [unrolled: 1-line block ×3, first 2 shown]
	v_mul_lo_u32 v9, v4, s42
	v_mul_lo_u32 v10, v3, s41
	;; [unrolled: 1-line block ×3, first 2 shown]
	v_mov_b32_e32 v6, 0
	v_mul_lo_u32 v12, v4, s38
	v_add_nc_u32_e32 v2, v1, v2
	v_add_nc_u32_e32 v5, v3, v5
	s_delay_alu instid0(VALU_DEP_4) | instskip(SKIP_1) | instid1(VALU_DEP_4)
	v_dual_mov_b32 v8, v6 :: v_dual_add_nc_u32 v7, v4, v7
	v_mul_lo_u32 v13, v3, s37
	v_lshrrev_b32_e32 v2, s5, v2
	s_delay_alu instid0(VALU_DEP_4) | instskip(NEXT) | instid1(VALU_DEP_4)
	v_lshrrev_b32_e32 v15, s8, v5
	v_lshrrev_b32_e32 v16, s11, v7
	v_add3_u32 v5, v10, v11, v9
	v_mul_lo_u32 v14, v1, s36
	v_mul_lo_u32 v9, v2, s6
	;; [unrolled: 1-line block ×4, first 2 shown]
	v_lshlrev_b64 v[5:6], 1, v[5:6]
	s_load_b512 s[4:19], s[0:1], 0x90
	s_cmp_lg_u64 s[2:3], 0
	v_mul_lo_u32 v2, s39, v0
	v_add3_u32 v7, v13, v14, v12
	v_sub_nc_u32_e32 v1, v1, v9
	v_sub_nc_u32_e32 v3, v3, v10
	;; [unrolled: 1-line block ×3, first 2 shown]
	v_add_co_u32 v9, vcc_lo, s2, v5
	v_add_co_ci_u32_e32 v5, vcc_lo, s3, v6, vcc_lo
	v_lshlrev_b64 v[7:8], 1, v[7:8]
	s_delay_alu instid0(VALU_DEP_4)
	v_mul_lo_u32 v10, v4, s30
	v_mul_lo_u32 v3, v3, s29
	v_mul_lo_u32 v1, v1, s28
	s_cselect_b32 vcc_lo, -1, 0
	s_mul_i32 s2, s21, s23
	v_cndmask_b32_e32 v5, 0, v5, vcc_lo
	v_cndmask_b32_e32 v4, 0, v9, vcc_lo
	v_add_co_u32 v6, vcc_lo, s24, v7
	v_add_co_ci_u32_e32 v7, vcc_lo, s25, v8, vcc_lo
	s_delay_alu instid0(VALU_DEP_3)
	v_cmp_ne_u64_e32 vcc_lo, 0, v[4:5]
	v_add3_u32 v8, v3, v10, v1
	s_mov_b32 s3, 0
	s_mul_i32 s21, s2, s39
	s_sub_i32 s22, 0, s22
	s_branch .LBB147_4
.LBB147_3:                              ;   in Loop: Header=BB147_4 Depth=1
	s_or_b32 exec_lo, exec_lo, s1
	v_mul_hi_u32 v3, s26, v0
	v_add_nc_u32_e32 v2, s21, v2
	s_delay_alu instid0(VALU_DEP_2) | instskip(NEXT) | instid1(VALU_DEP_1)
	v_add_nc_u32_e32 v3, v0, v3
	v_lshrrev_b32_e32 v3, s27, v3
	s_delay_alu instid0(VALU_DEP_1) | instskip(NEXT) | instid1(VALU_DEP_1)
	v_mad_u64_u32 v[9:10], null, s22, v3, v[0:1]
	v_mul_lo_u32 v3, v9, s43
	s_delay_alu instid0(VALU_DEP_1) | instskip(NEXT) | instid1(VALU_DEP_1)
	v_add_co_u32 v9, s0, v3, v8
	v_add_co_ci_u32_e64 v10, null, 0, 0, s0
	s_delay_alu instid0(VALU_DEP_1) | instskip(SKIP_1) | instid1(VALU_DEP_1)
	v_lshlrev_b64 v[9:10], 1, v[9:10]
	s_waitcnt lgkmcnt(0)
	v_add_co_u32 v11, s0, s4, v9
	s_delay_alu instid0(VALU_DEP_1) | instskip(SKIP_1) | instid1(VALU_DEP_1)
	v_add_co_ci_u32_e64 v12, s0, s5, v10, s0
	v_add_co_u32 v13, s0, s6, v9
	v_add_co_ci_u32_e64 v14, s0, s7, v10, s0
	global_load_u16 v3, v[11:12], off
	v_add_co_u32 v11, s0, s8, v9
	s_delay_alu instid0(VALU_DEP_1) | instskip(SKIP_2) | instid1(VALU_DEP_1)
	v_add_co_ci_u32_e64 v12, s0, s9, v10, s0
	global_load_u16 v15, v[13:14], off
	v_add_co_u32 v13, s0, s10, v9
	v_add_co_ci_u32_e64 v14, s0, s11, v10, s0
	global_load_u16 v16, v[11:12], off
	v_add_co_u32 v11, s0, s12, v9
	s_delay_alu instid0(VALU_DEP_1) | instskip(SKIP_2) | instid1(VALU_DEP_1)
	v_add_co_ci_u32_e64 v12, s0, s13, v10, s0
	global_load_u16 v17, v[13:14], off
	v_add_co_u32 v13, s0, s14, v9
	v_add_co_ci_u32_e64 v14, s0, s15, v10, s0
	global_load_u16 v18, v[11:12], off
	v_add_co_u32 v11, s0, s16, v9
	s_delay_alu instid0(VALU_DEP_1) | instskip(SKIP_3) | instid1(VALU_DEP_1)
	v_add_co_ci_u32_e64 v12, s0, s17, v10, s0
	global_load_u16 v13, v[13:14], off
	global_load_u16 v11, v[11:12], off
	v_add_co_u32 v9, s0, s18, v9
	v_add_co_ci_u32_e64 v10, s0, s19, v10, s0
	global_load_u16 v12, v[9:10], off
	s_waitcnt vmcnt(7)
	v_cvt_f32_f16_e32 v3, v3
	s_waitcnt vmcnt(6)
	v_cvt_f32_f16_e32 v9, v15
	s_delay_alu instid0(VALU_DEP_2) | instskip(SKIP_2) | instid1(VALU_DEP_2)
	v_mul_f32_e32 v1, v1, v3
	s_waitcnt vmcnt(5)
	v_cvt_f32_f16_e32 v3, v16
	v_mul_f32_e32 v1, v1, v9
	s_waitcnt vmcnt(4)
	v_cvt_f32_f16_e32 v9, v17
	s_delay_alu instid0(VALU_DEP_2) | instskip(SKIP_2) | instid1(VALU_DEP_2)
	v_mul_f32_e32 v1, v1, v3
	s_waitcnt vmcnt(3)
	v_cvt_f32_f16_e32 v3, v18
	v_mul_f32_e32 v1, v1, v9
	s_waitcnt vmcnt(2)
	v_cvt_f32_f16_e32 v9, v13
	s_delay_alu instid0(VALU_DEP_2) | instskip(SKIP_3) | instid1(VALU_DEP_3)
	v_mul_f32_e32 v3, v1, v3
	v_ashrrev_i32_e32 v1, 31, v0
	s_waitcnt vmcnt(1)
	v_cvt_f32_f16_e32 v11, v11
	v_mul_f32_e32 v3, v3, v9
	s_delay_alu instid0(VALU_DEP_3) | instskip(NEXT) | instid1(VALU_DEP_2)
	v_lshlrev_b64 v[9:10], 1, v[0:1]
	v_dual_mul_f32 v1, v3, v11 :: v_dual_add_nc_u32 v0, s2, v0
	s_delay_alu instid0(VALU_DEP_1) | instskip(NEXT) | instid1(VALU_DEP_3)
	v_cmp_le_i32_e64 s0, s20, v0
	v_add_co_u32 v9, s1, v6, v9
	s_waitcnt vmcnt(0)
	s_delay_alu instid0(VALU_DEP_3)
	v_fma_mixlo_f16 v1, v1, v12, 0 op_sel_hi:[0,1,0]
	v_add_co_ci_u32_e64 v10, s1, v7, v10, s1
	s_or_b32 s3, s0, s3
	global_store_b16 v[9:10], v1, off
	s_and_not1_b32 exec_lo, exec_lo, s3
	s_cbranch_execz .LBB147_6
.LBB147_4:                              ; =>This Inner Loop Header: Depth=1
	v_mov_b32_e32 v1, 0
	s_and_saveexec_b32 s1, vcc_lo
	s_cbranch_execz .LBB147_3
; %bb.5:                                ;   in Loop: Header=BB147_4 Depth=1
	v_ashrrev_i32_e32 v3, 31, v2
	s_delay_alu instid0(VALU_DEP_1) | instskip(NEXT) | instid1(VALU_DEP_1)
	v_lshlrev_b64 v[9:10], 1, v[2:3]
	v_add_co_u32 v9, s0, v4, v9
	s_delay_alu instid0(VALU_DEP_1)
	v_add_co_ci_u32_e64 v10, s0, v5, v10, s0
	global_load_u16 v1, v[9:10], off
	s_waitcnt vmcnt(0)
	v_cvt_f32_f16_e32 v1, v1
	s_branch .LBB147_3
.LBB147_6:
	s_nop 0
	s_sendmsg sendmsg(MSG_DEALLOC_VGPRS)
	s_endpgm
	.section	.rodata,"a",@progbits
	.p2align	6, 0x0
	.amdhsa_kernel _ZL11k_bin_bcastIXadL_ZL6op_mulffEE6__halfS0_S0_JPKS0_S2_S2_S2_S2_S2_S2_S2_EEvPKT0_PKT1_PT2_iii15HIP_vector_typeIjLj3EESC_SC_SC_SC_iiiiiiiiiiiDpT3_
		.amdhsa_group_segment_fixed_size 0
		.amdhsa_private_segment_fixed_size 0
		.amdhsa_kernarg_size 464
		.amdhsa_user_sgpr_count 13
		.amdhsa_user_sgpr_dispatch_ptr 0
		.amdhsa_user_sgpr_queue_ptr 0
		.amdhsa_user_sgpr_kernarg_segment_ptr 1
		.amdhsa_user_sgpr_dispatch_id 0
		.amdhsa_user_sgpr_private_segment_size 0
		.amdhsa_wavefront_size32 1
		.amdhsa_uses_dynamic_stack 0
		.amdhsa_enable_private_segment 0
		.amdhsa_system_sgpr_workgroup_id_x 1
		.amdhsa_system_sgpr_workgroup_id_y 1
		.amdhsa_system_sgpr_workgroup_id_z 1
		.amdhsa_system_sgpr_workgroup_info 0
		.amdhsa_system_vgpr_workitem_id 2
		.amdhsa_next_free_vgpr 19
		.amdhsa_next_free_sgpr 44
		.amdhsa_reserve_vcc 1
		.amdhsa_float_round_mode_32 0
		.amdhsa_float_round_mode_16_64 0
		.amdhsa_float_denorm_mode_32 3
		.amdhsa_float_denorm_mode_16_64 3
		.amdhsa_dx10_clamp 1
		.amdhsa_ieee_mode 1
		.amdhsa_fp16_overflow 0
		.amdhsa_workgroup_processor_mode 1
		.amdhsa_memory_ordered 1
		.amdhsa_forward_progress 0
		.amdhsa_shared_vgpr_count 0
		.amdhsa_exception_fp_ieee_invalid_op 0
		.amdhsa_exception_fp_denorm_src 0
		.amdhsa_exception_fp_ieee_div_zero 0
		.amdhsa_exception_fp_ieee_overflow 0
		.amdhsa_exception_fp_ieee_underflow 0
		.amdhsa_exception_fp_ieee_inexact 0
		.amdhsa_exception_int_div_zero 0
	.end_amdhsa_kernel
	.section	.text._ZL11k_bin_bcastIXadL_ZL6op_mulffEE6__halfS0_S0_JPKS0_S2_S2_S2_S2_S2_S2_S2_EEvPKT0_PKT1_PT2_iii15HIP_vector_typeIjLj3EESC_SC_SC_SC_iiiiiiiiiiiDpT3_,"axG",@progbits,_ZL11k_bin_bcastIXadL_ZL6op_mulffEE6__halfS0_S0_JPKS0_S2_S2_S2_S2_S2_S2_S2_EEvPKT0_PKT1_PT2_iii15HIP_vector_typeIjLj3EESC_SC_SC_SC_iiiiiiiiiiiDpT3_,comdat
.Lfunc_end147:
	.size	_ZL11k_bin_bcastIXadL_ZL6op_mulffEE6__halfS0_S0_JPKS0_S2_S2_S2_S2_S2_S2_S2_EEvPKT0_PKT1_PT2_iii15HIP_vector_typeIjLj3EESC_SC_SC_SC_iiiiiiiiiiiDpT3_, .Lfunc_end147-_ZL11k_bin_bcastIXadL_ZL6op_mulffEE6__halfS0_S0_JPKS0_S2_S2_S2_S2_S2_S2_S2_EEvPKT0_PKT1_PT2_iii15HIP_vector_typeIjLj3EESC_SC_SC_SC_iiiiiiiiiiiDpT3_
                                        ; -- End function
	.section	.AMDGPU.csdata,"",@progbits
; Kernel info:
; codeLenInByte = 1152
; NumSgprs: 46
; NumVgprs: 19
; ScratchSize: 0
; MemoryBound: 0
; FloatMode: 240
; IeeeMode: 1
; LDSByteSize: 0 bytes/workgroup (compile time only)
; SGPRBlocks: 5
; VGPRBlocks: 2
; NumSGPRsForWavesPerEU: 46
; NumVGPRsForWavesPerEU: 19
; Occupancy: 16
; WaveLimiterHint : 1
; COMPUTE_PGM_RSRC2:SCRATCH_EN: 0
; COMPUTE_PGM_RSRC2:USER_SGPR: 13
; COMPUTE_PGM_RSRC2:TRAP_HANDLER: 0
; COMPUTE_PGM_RSRC2:TGID_X_EN: 1
; COMPUTE_PGM_RSRC2:TGID_Y_EN: 1
; COMPUTE_PGM_RSRC2:TGID_Z_EN: 1
; COMPUTE_PGM_RSRC2:TIDIG_COMP_CNT: 2
	.section	.text._ZL19k_bin_bcast_unravelIXadL_ZL6op_mulffEE6__halffS0_JPKfS2_S2_S2_S2_S2_S2_S2_EEvPKT0_PKT1_PT2_15HIP_vector_typeIjLj3EESC_SC_jSC_SC_SC_SC_SC_SC_iiiiiiiiiiiDpT3_,"axG",@progbits,_ZL19k_bin_bcast_unravelIXadL_ZL6op_mulffEE6__halffS0_JPKfS2_S2_S2_S2_S2_S2_S2_EEvPKT0_PKT1_PT2_15HIP_vector_typeIjLj3EESC_SC_jSC_SC_SC_SC_SC_SC_iiiiiiiiiiiDpT3_,comdat
	.globl	_ZL19k_bin_bcast_unravelIXadL_ZL6op_mulffEE6__halffS0_JPKfS2_S2_S2_S2_S2_S2_S2_EEvPKT0_PKT1_PT2_15HIP_vector_typeIjLj3EESC_SC_jSC_SC_SC_SC_SC_SC_iiiiiiiiiiiDpT3_ ; -- Begin function _ZL19k_bin_bcast_unravelIXadL_ZL6op_mulffEE6__halffS0_JPKfS2_S2_S2_S2_S2_S2_S2_EEvPKT0_PKT1_PT2_15HIP_vector_typeIjLj3EESC_SC_jSC_SC_SC_SC_SC_SC_iiiiiiiiiiiDpT3_
	.p2align	8
	.type	_ZL19k_bin_bcast_unravelIXadL_ZL6op_mulffEE6__halffS0_JPKfS2_S2_S2_S2_S2_S2_S2_EEvPKT0_PKT1_PT2_15HIP_vector_typeIjLj3EESC_SC_jSC_SC_SC_SC_SC_SC_iiiiiiiiiiiDpT3_,@function
_ZL19k_bin_bcast_unravelIXadL_ZL6op_mulffEE6__halffS0_JPKfS2_S2_S2_S2_S2_S2_S2_EEvPKT0_PKT1_PT2_15HIP_vector_typeIjLj3EESC_SC_jSC_SC_SC_SC_SC_SC_iiiiiiiiiiiDpT3_: ; @_ZL19k_bin_bcast_unravelIXadL_ZL6op_mulffEE6__halffS0_JPKfS2_S2_S2_S2_S2_S2_S2_EEvPKT0_PKT1_PT2_15HIP_vector_typeIjLj3EESC_SC_jSC_SC_SC_SC_SC_SC_iiiiiiiiiiiDpT3_
; %bb.0:
	s_clause 0x1
	s_load_b32 s2, s[0:1], 0x104
	s_load_b256 s[4:11], s[0:1], 0x38
	s_waitcnt lgkmcnt(0)
	s_and_b32 s2, s2, 0xffff
	s_delay_alu instid0(SALU_CYCLE_1) | instskip(SKIP_3) | instid1(VALU_DEP_1)
	v_mad_u64_u32 v[2:3], null, s15, s2, v[0:1]
	s_clause 0x1
	s_load_b128 s[12:15], s[0:1], 0x18
	s_load_b32 s2, s[0:1], 0x2c
	v_mul_hi_u32 v0, v2, s6
	s_delay_alu instid0(VALU_DEP_1) | instskip(NEXT) | instid1(VALU_DEP_1)
	v_add_nc_u32_e32 v0, v2, v0
	v_lshrrev_b32_e32 v1, s7, v0
	s_delay_alu instid0(VALU_DEP_1) | instskip(NEXT) | instid1(VALU_DEP_1)
	v_mul_lo_u32 v0, v1, s8
	v_sub_nc_u32_e32 v0, v2, v0
	s_delay_alu instid0(VALU_DEP_1) | instskip(NEXT) | instid1(VALU_DEP_1)
	v_mul_hi_u32 v2, v0, s9
	v_add_nc_u32_e32 v2, v0, v2
	s_delay_alu instid0(VALU_DEP_1) | instskip(NEXT) | instid1(VALU_DEP_1)
	v_lshrrev_b32_e32 v2, s10, v2
	v_mul_lo_u32 v3, v2, s11
	v_cmp_gt_u32_e64 s3, s4, v2
	v_cmp_gt_u32_e64 s4, s5, v1
	s_delay_alu instid0(VALU_DEP_3) | instskip(SKIP_1) | instid1(VALU_DEP_1)
	v_sub_nc_u32_e32 v0, v0, v3
	s_waitcnt lgkmcnt(0)
	v_mul_hi_u32 v3, v0, s12
	s_delay_alu instid0(VALU_DEP_1) | instskip(NEXT) | instid1(VALU_DEP_1)
	v_add_nc_u32_e32 v3, v0, v3
	v_lshrrev_b32_e32 v3, s13, v3
	s_delay_alu instid0(VALU_DEP_1) | instskip(SKIP_1) | instid1(VALU_DEP_2)
	v_mul_lo_u32 v4, v3, s14
	v_cmp_gt_u32_e64 s2, s2, v3
	v_sub_nc_u32_e32 v0, v0, v4
	s_delay_alu instid0(VALU_DEP_1) | instskip(NEXT) | instid1(VALU_DEP_3)
	v_cmp_gt_u32_e32 vcc_lo, s14, v0
	s_and_b32 s2, vcc_lo, s2
	s_delay_alu instid0(SALU_CYCLE_1) | instskip(NEXT) | instid1(SALU_CYCLE_1)
	s_and_b32 s2, s2, s3
	s_and_b32 s2, s4, s2
	s_delay_alu instid0(SALU_CYCLE_1)
	s_and_saveexec_b32 s3, s2
	s_cbranch_execz .LBB148_5
; %bb.1:
	s_clause 0x4
	s_load_b64 s[2:3], s[0:1], 0x0
	s_load_b128 s[12:15], s[0:1], 0xa8
	s_load_b256 s[20:27], s[0:1], 0x88
	s_load_b128 s[16:19], s[0:1], 0x78
	s_load_b256 s[4:11], s[0:1], 0x58
	s_waitcnt lgkmcnt(0)
	s_cmp_eq_u64 s[2:3], 0
	s_cbranch_scc1 .LBB148_3
; %bb.2:
	v_mul_lo_u32 v4, v1, s26
	v_mul_lo_u32 v6, v2, s25
	;; [unrolled: 1-line block ×3, first 2 shown]
	v_mov_b32_e32 v5, 0
	s_delay_alu instid0(VALU_DEP_2) | instskip(NEXT) | instid1(VALU_DEP_1)
	v_add3_u32 v4, v6, v4, v7
	v_lshlrev_b64 v[6:7], 1, v[4:5]
	v_mul_lo_u32 v4, v0, s23
	s_delay_alu instid0(VALU_DEP_2) | instskip(NEXT) | instid1(VALU_DEP_3)
	v_add_co_u32 v6, vcc_lo, s2, v6
	v_add_co_ci_u32_e32 v7, vcc_lo, s3, v7, vcc_lo
	s_delay_alu instid0(VALU_DEP_3) | instskip(NEXT) | instid1(VALU_DEP_1)
	v_lshlrev_b64 v[4:5], 1, v[4:5]
	v_add_co_u32 v4, vcc_lo, v6, v4
	s_delay_alu instid0(VALU_DEP_2)
	v_add_co_ci_u32_e32 v5, vcc_lo, v7, v5, vcc_lo
	global_load_u16 v4, v[4:5], off
	s_waitcnt vmcnt(0)
	v_cvt_f32_f16_e32 v4, v4
	s_branch .LBB148_4
.LBB148_3:
	v_mov_b32_e32 v4, 0
.LBB148_4:
	v_mul_hi_u32 v5, s17, v1
	v_mul_hi_u32 v6, s10, v2
	;; [unrolled: 1-line block ×4, first 2 shown]
	s_delay_alu instid0(VALU_DEP_4) | instskip(NEXT) | instid1(VALU_DEP_4)
	v_add_nc_u32_e32 v5, v1, v5
	v_add_nc_u32_e32 v6, v2, v6
	s_delay_alu instid0(VALU_DEP_4) | instskip(NEXT) | instid1(VALU_DEP_4)
	v_add_nc_u32_e32 v7, v3, v7
	v_add_nc_u32_e32 v8, v0, v8
	s_delay_alu instid0(VALU_DEP_4) | instskip(NEXT) | instid1(VALU_DEP_4)
	v_lshrrev_b32_e32 v5, s18, v5
	v_lshrrev_b32_e32 v6, s11, v6
	s_delay_alu instid0(VALU_DEP_4) | instskip(NEXT) | instid1(VALU_DEP_4)
	v_lshrrev_b32_e32 v7, s8, v7
	v_lshrrev_b32_e32 v8, s5, v8
	s_delay_alu instid0(VALU_DEP_4) | instskip(NEXT) | instid1(VALU_DEP_4)
	v_mul_lo_u32 v5, v5, s19
	v_mul_lo_u32 v6, v6, s16
	s_delay_alu instid0(VALU_DEP_4) | instskip(NEXT) | instid1(VALU_DEP_4)
	v_mul_lo_u32 v7, v7, s9
	v_mul_lo_u32 v8, v8, s6
	s_delay_alu instid0(VALU_DEP_4) | instskip(NEXT) | instid1(VALU_DEP_4)
	v_sub_nc_u32_e32 v5, v1, v5
	v_sub_nc_u32_e32 v6, v2, v6
	s_delay_alu instid0(VALU_DEP_4) | instskip(NEXT) | instid1(VALU_DEP_4)
	v_sub_nc_u32_e32 v7, v3, v7
	v_sub_nc_u32_e32 v8, v0, v8
	v_mul_lo_u32 v1, v1, s22
	v_mul_lo_u32 v5, v5, s14
	v_mul_lo_u32 v6, v6, s13
	v_mul_lo_u32 v7, v7, s12
	v_mul_lo_u32 v8, v8, s27
	s_clause 0x1
	s_load_b512 s[4:19], s[0:1], 0xb8
	s_load_b64 s[0:1], s[0:1], 0x10
	v_mul_lo_u32 v2, v2, s21
	s_delay_alu instid0(VALU_DEP_3) | instskip(NEXT) | instid1(VALU_DEP_3)
	v_add3_u32 v5, v6, v5, v7
	v_ashrrev_i32_e32 v6, 31, v8
	s_delay_alu instid0(VALU_DEP_2) | instskip(SKIP_1) | instid1(VALU_DEP_2)
	v_ashrrev_i32_e32 v7, 31, v5
	v_add_co_u32 v5, vcc_lo, v8, v5
	v_add_co_ci_u32_e32 v6, vcc_lo, v6, v7, vcc_lo
	s_delay_alu instid0(VALU_DEP_1) | instskip(SKIP_1) | instid1(VALU_DEP_1)
	v_lshlrev_b64 v[5:6], 2, v[5:6]
	s_waitcnt lgkmcnt(0)
	v_add_co_u32 v7, vcc_lo, s4, v5
	s_delay_alu instid0(VALU_DEP_2)
	v_add_co_ci_u32_e32 v8, vcc_lo, s5, v6, vcc_lo
	v_add_co_u32 v9, vcc_lo, s6, v5
	v_add_co_ci_u32_e32 v10, vcc_lo, s7, v6, vcc_lo
	global_load_b32 v11, v[7:8], off
	v_add_co_u32 v7, vcc_lo, s8, v5
	v_add_co_ci_u32_e32 v8, vcc_lo, s9, v6, vcc_lo
	global_load_b32 v12, v[9:10], off
	;; [unrolled: 3-line block ×7, first 2 shown]
	global_load_b32 v5, v[5:6], off
	v_mul_lo_u32 v6, v3, s20
	v_mov_b32_e32 v3, 0
	s_delay_alu instid0(VALU_DEP_2) | instskip(NEXT) | instid1(VALU_DEP_2)
	v_add3_u32 v2, v2, v1, v6
	v_mov_b32_e32 v1, v3
	s_delay_alu instid0(VALU_DEP_2) | instskip(NEXT) | instid1(VALU_DEP_2)
	v_lshlrev_b64 v[2:3], 1, v[2:3]
	v_lshlrev_b64 v[0:1], 1, v[0:1]
	s_delay_alu instid0(VALU_DEP_2) | instskip(NEXT) | instid1(VALU_DEP_3)
	v_add_co_u32 v2, vcc_lo, s0, v2
	v_add_co_ci_u32_e32 v3, vcc_lo, s1, v3, vcc_lo
	s_delay_alu instid0(VALU_DEP_2) | instskip(NEXT) | instid1(VALU_DEP_2)
	v_add_co_u32 v0, vcc_lo, v2, v0
	v_add_co_ci_u32_e32 v1, vcc_lo, v3, v1, vcc_lo
	s_waitcnt vmcnt(7)
	v_mul_f32_e32 v4, v4, v11
	s_waitcnt vmcnt(6)
	s_delay_alu instid0(VALU_DEP_1) | instskip(SKIP_1) | instid1(VALU_DEP_1)
	v_mul_f32_e32 v4, v4, v12
	s_waitcnt vmcnt(5)
	v_mul_f32_e32 v4, v4, v13
	s_waitcnt vmcnt(4)
	s_delay_alu instid0(VALU_DEP_1) | instskip(SKIP_1) | instid1(VALU_DEP_1)
	v_mul_f32_e32 v4, v4, v14
	;; [unrolled: 5-line block ×3, first 2 shown]
	s_waitcnt vmcnt(1)
	v_mul_f32_e32 v4, v4, v7
	s_waitcnt vmcnt(0)
	s_delay_alu instid0(VALU_DEP_1)
	v_fma_mixlo_f16 v4, v4, v5, 0
	global_store_b16 v[0:1], v4, off
.LBB148_5:
	s_nop 0
	s_sendmsg sendmsg(MSG_DEALLOC_VGPRS)
	s_endpgm
	.section	.rodata,"a",@progbits
	.p2align	6, 0x0
	.amdhsa_kernel _ZL19k_bin_bcast_unravelIXadL_ZL6op_mulffEE6__halffS0_JPKfS2_S2_S2_S2_S2_S2_S2_EEvPKT0_PKT1_PT2_15HIP_vector_typeIjLj3EESC_SC_jSC_SC_SC_SC_SC_SC_iiiiiiiiiiiDpT3_
		.amdhsa_group_segment_fixed_size 0
		.amdhsa_private_segment_fixed_size 0
		.amdhsa_kernarg_size 504
		.amdhsa_user_sgpr_count 15
		.amdhsa_user_sgpr_dispatch_ptr 0
		.amdhsa_user_sgpr_queue_ptr 0
		.amdhsa_user_sgpr_kernarg_segment_ptr 1
		.amdhsa_user_sgpr_dispatch_id 0
		.amdhsa_user_sgpr_private_segment_size 0
		.amdhsa_wavefront_size32 1
		.amdhsa_uses_dynamic_stack 0
		.amdhsa_enable_private_segment 0
		.amdhsa_system_sgpr_workgroup_id_x 1
		.amdhsa_system_sgpr_workgroup_id_y 0
		.amdhsa_system_sgpr_workgroup_id_z 0
		.amdhsa_system_sgpr_workgroup_info 0
		.amdhsa_system_vgpr_workitem_id 0
		.amdhsa_next_free_vgpr 16
		.amdhsa_next_free_sgpr 28
		.amdhsa_reserve_vcc 1
		.amdhsa_float_round_mode_32 0
		.amdhsa_float_round_mode_16_64 0
		.amdhsa_float_denorm_mode_32 3
		.amdhsa_float_denorm_mode_16_64 3
		.amdhsa_dx10_clamp 1
		.amdhsa_ieee_mode 1
		.amdhsa_fp16_overflow 0
		.amdhsa_workgroup_processor_mode 1
		.amdhsa_memory_ordered 1
		.amdhsa_forward_progress 0
		.amdhsa_shared_vgpr_count 0
		.amdhsa_exception_fp_ieee_invalid_op 0
		.amdhsa_exception_fp_denorm_src 0
		.amdhsa_exception_fp_ieee_div_zero 0
		.amdhsa_exception_fp_ieee_overflow 0
		.amdhsa_exception_fp_ieee_underflow 0
		.amdhsa_exception_fp_ieee_inexact 0
		.amdhsa_exception_int_div_zero 0
	.end_amdhsa_kernel
	.section	.text._ZL19k_bin_bcast_unravelIXadL_ZL6op_mulffEE6__halffS0_JPKfS2_S2_S2_S2_S2_S2_S2_EEvPKT0_PKT1_PT2_15HIP_vector_typeIjLj3EESC_SC_jSC_SC_SC_SC_SC_SC_iiiiiiiiiiiDpT3_,"axG",@progbits,_ZL19k_bin_bcast_unravelIXadL_ZL6op_mulffEE6__halffS0_JPKfS2_S2_S2_S2_S2_S2_S2_EEvPKT0_PKT1_PT2_15HIP_vector_typeIjLj3EESC_SC_jSC_SC_SC_SC_SC_SC_iiiiiiiiiiiDpT3_,comdat
.Lfunc_end148:
	.size	_ZL19k_bin_bcast_unravelIXadL_ZL6op_mulffEE6__halffS0_JPKfS2_S2_S2_S2_S2_S2_S2_EEvPKT0_PKT1_PT2_15HIP_vector_typeIjLj3EESC_SC_jSC_SC_SC_SC_SC_SC_iiiiiiiiiiiDpT3_, .Lfunc_end148-_ZL19k_bin_bcast_unravelIXadL_ZL6op_mulffEE6__halffS0_JPKfS2_S2_S2_S2_S2_S2_S2_EEvPKT0_PKT1_PT2_15HIP_vector_typeIjLj3EESC_SC_jSC_SC_SC_SC_SC_SC_iiiiiiiiiiiDpT3_
                                        ; -- End function
	.section	.AMDGPU.csdata,"",@progbits
; Kernel info:
; codeLenInByte = 1032
; NumSgprs: 30
; NumVgprs: 16
; ScratchSize: 0
; MemoryBound: 0
; FloatMode: 240
; IeeeMode: 1
; LDSByteSize: 0 bytes/workgroup (compile time only)
; SGPRBlocks: 3
; VGPRBlocks: 1
; NumSGPRsForWavesPerEU: 30
; NumVGPRsForWavesPerEU: 16
; Occupancy: 16
; WaveLimiterHint : 1
; COMPUTE_PGM_RSRC2:SCRATCH_EN: 0
; COMPUTE_PGM_RSRC2:USER_SGPR: 15
; COMPUTE_PGM_RSRC2:TRAP_HANDLER: 0
; COMPUTE_PGM_RSRC2:TGID_X_EN: 1
; COMPUTE_PGM_RSRC2:TGID_Y_EN: 0
; COMPUTE_PGM_RSRC2:TGID_Z_EN: 0
; COMPUTE_PGM_RSRC2:TIDIG_COMP_CNT: 0
	.section	.text._ZL11k_bin_bcastIXadL_ZL6op_mulffEE6__halffS0_JPKfS2_S2_S2_S2_S2_S2_S2_EEvPKT0_PKT1_PT2_iii15HIP_vector_typeIjLj3EESC_SC_SC_SC_iiiiiiiiiiiDpT3_,"axG",@progbits,_ZL11k_bin_bcastIXadL_ZL6op_mulffEE6__halffS0_JPKfS2_S2_S2_S2_S2_S2_S2_EEvPKT0_PKT1_PT2_iii15HIP_vector_typeIjLj3EESC_SC_SC_SC_iiiiiiiiiiiDpT3_,comdat
	.globl	_ZL11k_bin_bcastIXadL_ZL6op_mulffEE6__halffS0_JPKfS2_S2_S2_S2_S2_S2_S2_EEvPKT0_PKT1_PT2_iii15HIP_vector_typeIjLj3EESC_SC_SC_SC_iiiiiiiiiiiDpT3_ ; -- Begin function _ZL11k_bin_bcastIXadL_ZL6op_mulffEE6__halffS0_JPKfS2_S2_S2_S2_S2_S2_S2_EEvPKT0_PKT1_PT2_iii15HIP_vector_typeIjLj3EESC_SC_SC_SC_iiiiiiiiiiiDpT3_
	.p2align	8
	.type	_ZL11k_bin_bcastIXadL_ZL6op_mulffEE6__halffS0_JPKfS2_S2_S2_S2_S2_S2_S2_EEvPKT0_PKT1_PT2_iii15HIP_vector_typeIjLj3EESC_SC_SC_SC_iiiiiiiiiiiDpT3_,@function
_ZL11k_bin_bcastIXadL_ZL6op_mulffEE6__halffS0_JPKfS2_S2_S2_S2_S2_S2_S2_EEvPKT0_PKT1_PT2_iii15HIP_vector_typeIjLj3EESC_SC_SC_SC_iiiiiiiiiiiDpT3_: ; @_ZL11k_bin_bcastIXadL_ZL6op_mulffEE6__halffS0_JPKfS2_S2_S2_S2_S2_S2_S2_EEvPKT0_PKT1_PT2_iii15HIP_vector_typeIjLj3EESC_SC_SC_SC_iiiiiiiiiiiDpT3_
; %bb.0:
	s_clause 0x1
	s_load_b64 s[2:3], s[0:1], 0xdc
	s_load_b256 s[20:27], s[0:1], 0x18
	v_bfe_u32 v1, v0, 20, 10
	s_add_u32 s16, s0, 0xd0
	s_addc_u32 s17, s1, 0
	s_waitcnt lgkmcnt(0)
	s_and_b32 s3, s3, 0xffff
	s_delay_alu instid0(SALU_CYCLE_1) | instskip(SKIP_3) | instid1(VALU_DEP_3)
	v_mad_u64_u32 v[4:5], null, s15, s3, v[1:2]
	v_and_b32_e32 v2, 0x3ff, v0
	v_bfe_u32 v5, v0, 10, 10
	s_lshr_b32 s3, s2, 16
	v_mul_hi_u32 v1, v4, s23
	s_and_b32 s23, s2, 0xffff
	s_delay_alu instid0(VALU_DEP_1) | instskip(NEXT) | instid1(VALU_DEP_1)
	v_add_nc_u32_e32 v1, v4, v1
	v_lshrrev_b32_e32 v3, s24, v1
	s_delay_alu instid0(VALU_DEP_1) | instskip(SKIP_1) | instid1(VALU_DEP_2)
	v_mul_lo_u32 v6, v3, s25
	v_mad_u64_u32 v[0:1], null, s13, s23, v[2:3]
	v_mad_u64_u32 v[1:2], null, s14, s3, v[5:6]
	v_sub_nc_u32_e32 v4, v4, v6
	s_delay_alu instid0(VALU_DEP_3) | instskip(SKIP_1) | instid1(VALU_DEP_3)
	v_cmp_gt_u32_e32 vcc_lo, s20, v0
	v_cmp_gt_u32_e64 s3, s22, v3
	v_cmp_gt_u32_e64 s4, s25, v4
	;; [unrolled: 1-line block ×3, first 2 shown]
	s_delay_alu instid0(VALU_DEP_1)
	s_and_b32 s2, vcc_lo, s2
	s_delay_alu instid0(VALU_DEP_3) | instid1(SALU_CYCLE_1)
	s_and_b32 s2, s2, s3
	s_delay_alu instid0(VALU_DEP_2) | instid1(SALU_CYCLE_1)
	s_and_b32 s2, s2, s4
	s_delay_alu instid0(SALU_CYCLE_1)
	s_and_saveexec_b32 s3, s2
	s_cbranch_execz .LBB149_6
; %bb.1:
	v_cmp_gt_i32_e32 vcc_lo, s20, v0
	s_and_b32 exec_lo, exec_lo, vcc_lo
	s_cbranch_execz .LBB149_6
; %bb.2:
	s_clause 0x2
	s_load_b256 s[4:11], s[0:1], 0x3c
	s_load_b256 s[36:43], s[0:1], 0x60
	s_load_b128 s[28:31], s[0:1], 0x80
	s_load_b32 s21, s[16:17], 0x0
	s_clause 0x3
	s_load_b32 s12, s[0:1], 0x5c
	s_load_b64 s[2:3], s[0:1], 0x0
	s_load_b32 s22, s[0:1], 0x38
	s_load_b64 s[24:25], s[0:1], 0x10
	s_waitcnt lgkmcnt(0)
	v_mul_hi_u32 v2, s4, v1
	v_mul_hi_u32 v5, s7, v3
	;; [unrolled: 1-line block ×3, first 2 shown]
	v_mul_lo_u32 v9, v4, s42
	v_mul_lo_u32 v10, v3, s41
	;; [unrolled: 1-line block ×3, first 2 shown]
	v_mov_b32_e32 v6, 0
	v_mul_lo_u32 v12, v4, s38
	v_add_nc_u32_e32 v2, v1, v2
	v_add_nc_u32_e32 v5, v3, v5
	s_delay_alu instid0(VALU_DEP_4) | instskip(SKIP_1) | instid1(VALU_DEP_4)
	v_dual_mov_b32 v8, v6 :: v_dual_add_nc_u32 v7, v4, v7
	v_mul_lo_u32 v13, v3, s37
	v_lshrrev_b32_e32 v2, s5, v2
	s_delay_alu instid0(VALU_DEP_4) | instskip(NEXT) | instid1(VALU_DEP_4)
	v_lshrrev_b32_e32 v15, s8, v5
	v_lshrrev_b32_e32 v16, s11, v7
	v_add3_u32 v5, v10, v11, v9
	v_mul_lo_u32 v14, v1, s36
	v_mul_lo_u32 v9, v2, s6
	;; [unrolled: 1-line block ×4, first 2 shown]
	v_lshlrev_b64 v[5:6], 1, v[5:6]
	s_load_b512 s[4:19], s[0:1], 0x90
	s_cmp_lg_u64 s[2:3], 0
	v_mul_lo_u32 v2, s39, v0
	v_add3_u32 v7, v13, v14, v12
	v_sub_nc_u32_e32 v1, v1, v9
	v_sub_nc_u32_e32 v3, v3, v10
	;; [unrolled: 1-line block ×3, first 2 shown]
	v_add_co_u32 v9, vcc_lo, s2, v5
	v_add_co_ci_u32_e32 v5, vcc_lo, s3, v6, vcc_lo
	v_lshlrev_b64 v[7:8], 1, v[7:8]
	s_delay_alu instid0(VALU_DEP_4)
	v_mul_lo_u32 v10, v4, s30
	v_mul_lo_u32 v3, v3, s29
	;; [unrolled: 1-line block ×3, first 2 shown]
	s_cselect_b32 vcc_lo, -1, 0
	s_mul_i32 s2, s21, s23
	v_cndmask_b32_e32 v5, 0, v5, vcc_lo
	v_cndmask_b32_e32 v4, 0, v9, vcc_lo
	v_add_co_u32 v6, vcc_lo, s24, v7
	v_add_co_ci_u32_e32 v7, vcc_lo, s25, v8, vcc_lo
	s_delay_alu instid0(VALU_DEP_3)
	v_cmp_ne_u64_e32 vcc_lo, 0, v[4:5]
	v_add3_u32 v8, v3, v10, v1
	s_mov_b32 s3, 0
	s_mul_i32 s21, s2, s39
	s_sub_i32 s22, 0, s22
	s_branch .LBB149_4
.LBB149_3:                              ;   in Loop: Header=BB149_4 Depth=1
	s_or_b32 exec_lo, exec_lo, s1
	v_mul_hi_u32 v3, s26, v0
	v_add_nc_u32_e32 v2, s21, v2
	s_delay_alu instid0(VALU_DEP_2) | instskip(NEXT) | instid1(VALU_DEP_1)
	v_add_nc_u32_e32 v3, v0, v3
	v_lshrrev_b32_e32 v3, s27, v3
	s_delay_alu instid0(VALU_DEP_1) | instskip(NEXT) | instid1(VALU_DEP_1)
	v_mad_u64_u32 v[9:10], null, s22, v3, v[0:1]
	v_mul_lo_u32 v3, v9, s43
	s_delay_alu instid0(VALU_DEP_1) | instskip(NEXT) | instid1(VALU_DEP_1)
	v_add_co_u32 v9, s0, v3, v8
	v_add_co_ci_u32_e64 v10, null, 0, 0, s0
	s_delay_alu instid0(VALU_DEP_1) | instskip(SKIP_1) | instid1(VALU_DEP_1)
	v_lshlrev_b64 v[9:10], 2, v[9:10]
	s_waitcnt lgkmcnt(0)
	v_add_co_u32 v11, s0, s4, v9
	s_delay_alu instid0(VALU_DEP_1) | instskip(SKIP_1) | instid1(VALU_DEP_1)
	v_add_co_ci_u32_e64 v12, s0, s5, v10, s0
	v_add_co_u32 v13, s0, s6, v9
	v_add_co_ci_u32_e64 v14, s0, s7, v10, s0
	global_load_b32 v3, v[11:12], off
	v_add_co_u32 v11, s0, s8, v9
	s_delay_alu instid0(VALU_DEP_1) | instskip(SKIP_2) | instid1(VALU_DEP_1)
	v_add_co_ci_u32_e64 v12, s0, s9, v10, s0
	global_load_b32 v15, v[13:14], off
	v_add_co_u32 v13, s0, s10, v9
	v_add_co_ci_u32_e64 v14, s0, s11, v10, s0
	global_load_b32 v16, v[11:12], off
	v_add_co_u32 v11, s0, s12, v9
	s_delay_alu instid0(VALU_DEP_1) | instskip(SKIP_2) | instid1(VALU_DEP_1)
	v_add_co_ci_u32_e64 v12, s0, s13, v10, s0
	global_load_b32 v17, v[13:14], off
	;; [unrolled: 7-line block ×3, first 2 shown]
	v_add_co_u32 v9, s0, s18, v9
	v_add_co_ci_u32_e64 v10, s0, s19, v10, s0
	global_load_b32 v11, v[11:12], off
	global_load_b32 v12, v[9:10], off
	s_waitcnt vmcnt(7)
	v_mul_f32_e32 v1, v1, v3
	s_waitcnt vmcnt(6)
	s_delay_alu instid0(VALU_DEP_1) | instskip(SKIP_1) | instid1(VALU_DEP_1)
	v_mul_f32_e32 v1, v1, v15
	s_waitcnt vmcnt(5)
	v_mul_f32_e32 v1, v1, v16
	s_waitcnt vmcnt(4)
	s_delay_alu instid0(VALU_DEP_1) | instskip(SKIP_1) | instid1(VALU_DEP_1)
	v_mul_f32_e32 v1, v1, v17
	s_waitcnt vmcnt(3)
	v_mul_f32_e32 v3, v1, v18
	v_ashrrev_i32_e32 v1, 31, v0
	s_waitcnt vmcnt(2)
	s_delay_alu instid0(VALU_DEP_2) | instskip(NEXT) | instid1(VALU_DEP_2)
	v_mul_f32_e32 v3, v3, v13
	v_lshlrev_b64 v[9:10], 1, v[0:1]
	s_waitcnt vmcnt(1)
	s_delay_alu instid0(VALU_DEP_2) | instskip(NEXT) | instid1(VALU_DEP_1)
	v_dual_mul_f32 v1, v3, v11 :: v_dual_add_nc_u32 v0, s2, v0
	v_cmp_le_i32_e64 s0, s20, v0
	s_delay_alu instid0(VALU_DEP_3) | instskip(NEXT) | instid1(VALU_DEP_1)
	v_add_co_u32 v9, s1, v6, v9
	v_add_co_ci_u32_e64 v10, s1, v7, v10, s1
	s_waitcnt vmcnt(0)
	v_fma_mixlo_f16 v1, v1, v12, 0
	s_or_b32 s3, s0, s3
	global_store_b16 v[9:10], v1, off
	s_and_not1_b32 exec_lo, exec_lo, s3
	s_cbranch_execz .LBB149_6
.LBB149_4:                              ; =>This Inner Loop Header: Depth=1
	v_mov_b32_e32 v1, 0
	s_and_saveexec_b32 s1, vcc_lo
	s_cbranch_execz .LBB149_3
; %bb.5:                                ;   in Loop: Header=BB149_4 Depth=1
	v_ashrrev_i32_e32 v3, 31, v2
	s_delay_alu instid0(VALU_DEP_1) | instskip(NEXT) | instid1(VALU_DEP_1)
	v_lshlrev_b64 v[9:10], 1, v[2:3]
	v_add_co_u32 v9, s0, v4, v9
	s_delay_alu instid0(VALU_DEP_1)
	v_add_co_ci_u32_e64 v10, s0, v5, v10, s0
	global_load_u16 v1, v[9:10], off
	s_waitcnt vmcnt(0)
	v_cvt_f32_f16_e32 v1, v1
	s_branch .LBB149_3
.LBB149_6:
	s_nop 0
	s_sendmsg sendmsg(MSG_DEALLOC_VGPRS)
	s_endpgm
	.section	.rodata,"a",@progbits
	.p2align	6, 0x0
	.amdhsa_kernel _ZL11k_bin_bcastIXadL_ZL6op_mulffEE6__halffS0_JPKfS2_S2_S2_S2_S2_S2_S2_EEvPKT0_PKT1_PT2_iii15HIP_vector_typeIjLj3EESC_SC_SC_SC_iiiiiiiiiiiDpT3_
		.amdhsa_group_segment_fixed_size 0
		.amdhsa_private_segment_fixed_size 0
		.amdhsa_kernarg_size 464
		.amdhsa_user_sgpr_count 13
		.amdhsa_user_sgpr_dispatch_ptr 0
		.amdhsa_user_sgpr_queue_ptr 0
		.amdhsa_user_sgpr_kernarg_segment_ptr 1
		.amdhsa_user_sgpr_dispatch_id 0
		.amdhsa_user_sgpr_private_segment_size 0
		.amdhsa_wavefront_size32 1
		.amdhsa_uses_dynamic_stack 0
		.amdhsa_enable_private_segment 0
		.amdhsa_system_sgpr_workgroup_id_x 1
		.amdhsa_system_sgpr_workgroup_id_y 1
		.amdhsa_system_sgpr_workgroup_id_z 1
		.amdhsa_system_sgpr_workgroup_info 0
		.amdhsa_system_vgpr_workitem_id 2
		.amdhsa_next_free_vgpr 19
		.amdhsa_next_free_sgpr 44
		.amdhsa_reserve_vcc 1
		.amdhsa_float_round_mode_32 0
		.amdhsa_float_round_mode_16_64 0
		.amdhsa_float_denorm_mode_32 3
		.amdhsa_float_denorm_mode_16_64 3
		.amdhsa_dx10_clamp 1
		.amdhsa_ieee_mode 1
		.amdhsa_fp16_overflow 0
		.amdhsa_workgroup_processor_mode 1
		.amdhsa_memory_ordered 1
		.amdhsa_forward_progress 0
		.amdhsa_shared_vgpr_count 0
		.amdhsa_exception_fp_ieee_invalid_op 0
		.amdhsa_exception_fp_denorm_src 0
		.amdhsa_exception_fp_ieee_div_zero 0
		.amdhsa_exception_fp_ieee_overflow 0
		.amdhsa_exception_fp_ieee_underflow 0
		.amdhsa_exception_fp_ieee_inexact 0
		.amdhsa_exception_int_div_zero 0
	.end_amdhsa_kernel
	.section	.text._ZL11k_bin_bcastIXadL_ZL6op_mulffEE6__halffS0_JPKfS2_S2_S2_S2_S2_S2_S2_EEvPKT0_PKT1_PT2_iii15HIP_vector_typeIjLj3EESC_SC_SC_SC_iiiiiiiiiiiDpT3_,"axG",@progbits,_ZL11k_bin_bcastIXadL_ZL6op_mulffEE6__halffS0_JPKfS2_S2_S2_S2_S2_S2_S2_EEvPKT0_PKT1_PT2_iii15HIP_vector_typeIjLj3EESC_SC_SC_SC_iiiiiiiiiiiDpT3_,comdat
.Lfunc_end149:
	.size	_ZL11k_bin_bcastIXadL_ZL6op_mulffEE6__halffS0_JPKfS2_S2_S2_S2_S2_S2_S2_EEvPKT0_PKT1_PT2_iii15HIP_vector_typeIjLj3EESC_SC_SC_SC_iiiiiiiiiiiDpT3_, .Lfunc_end149-_ZL11k_bin_bcastIXadL_ZL6op_mulffEE6__halffS0_JPKfS2_S2_S2_S2_S2_S2_S2_EEvPKT0_PKT1_PT2_iii15HIP_vector_typeIjLj3EESC_SC_SC_SC_iiiiiiiiiiiDpT3_
                                        ; -- End function
	.section	.AMDGPU.csdata,"",@progbits
; Kernel info:
; codeLenInByte = 1120
; NumSgprs: 46
; NumVgprs: 19
; ScratchSize: 0
; MemoryBound: 0
; FloatMode: 240
; IeeeMode: 1
; LDSByteSize: 0 bytes/workgroup (compile time only)
; SGPRBlocks: 5
; VGPRBlocks: 2
; NumSGPRsForWavesPerEU: 46
; NumVGPRsForWavesPerEU: 19
; Occupancy: 16
; WaveLimiterHint : 1
; COMPUTE_PGM_RSRC2:SCRATCH_EN: 0
; COMPUTE_PGM_RSRC2:USER_SGPR: 13
; COMPUTE_PGM_RSRC2:TRAP_HANDLER: 0
; COMPUTE_PGM_RSRC2:TGID_X_EN: 1
; COMPUTE_PGM_RSRC2:TGID_Y_EN: 1
; COMPUTE_PGM_RSRC2:TGID_Z_EN: 1
; COMPUTE_PGM_RSRC2:TIDIG_COMP_CNT: 2
	.section	.text._ZL19k_bin_bcast_unravelIXadL_ZL6op_mulffEE6__halfffJPKfS2_S2_S2_S2_S2_S2_S2_EEvPKT0_PKT1_PT2_15HIP_vector_typeIjLj3EESC_SC_jSC_SC_SC_SC_SC_SC_iiiiiiiiiiiDpT3_,"axG",@progbits,_ZL19k_bin_bcast_unravelIXadL_ZL6op_mulffEE6__halfffJPKfS2_S2_S2_S2_S2_S2_S2_EEvPKT0_PKT1_PT2_15HIP_vector_typeIjLj3EESC_SC_jSC_SC_SC_SC_SC_SC_iiiiiiiiiiiDpT3_,comdat
	.globl	_ZL19k_bin_bcast_unravelIXadL_ZL6op_mulffEE6__halfffJPKfS2_S2_S2_S2_S2_S2_S2_EEvPKT0_PKT1_PT2_15HIP_vector_typeIjLj3EESC_SC_jSC_SC_SC_SC_SC_SC_iiiiiiiiiiiDpT3_ ; -- Begin function _ZL19k_bin_bcast_unravelIXadL_ZL6op_mulffEE6__halfffJPKfS2_S2_S2_S2_S2_S2_S2_EEvPKT0_PKT1_PT2_15HIP_vector_typeIjLj3EESC_SC_jSC_SC_SC_SC_SC_SC_iiiiiiiiiiiDpT3_
	.p2align	8
	.type	_ZL19k_bin_bcast_unravelIXadL_ZL6op_mulffEE6__halfffJPKfS2_S2_S2_S2_S2_S2_S2_EEvPKT0_PKT1_PT2_15HIP_vector_typeIjLj3EESC_SC_jSC_SC_SC_SC_SC_SC_iiiiiiiiiiiDpT3_,@function
_ZL19k_bin_bcast_unravelIXadL_ZL6op_mulffEE6__halfffJPKfS2_S2_S2_S2_S2_S2_S2_EEvPKT0_PKT1_PT2_15HIP_vector_typeIjLj3EESC_SC_jSC_SC_SC_SC_SC_SC_iiiiiiiiiiiDpT3_: ; @_ZL19k_bin_bcast_unravelIXadL_ZL6op_mulffEE6__halfffJPKfS2_S2_S2_S2_S2_S2_S2_EEvPKT0_PKT1_PT2_15HIP_vector_typeIjLj3EESC_SC_jSC_SC_SC_SC_SC_SC_iiiiiiiiiiiDpT3_
; %bb.0:
	s_clause 0x1
	s_load_b32 s2, s[0:1], 0x104
	s_load_b256 s[4:11], s[0:1], 0x38
	s_waitcnt lgkmcnt(0)
	s_and_b32 s2, s2, 0xffff
	s_delay_alu instid0(SALU_CYCLE_1) | instskip(SKIP_3) | instid1(VALU_DEP_1)
	v_mad_u64_u32 v[2:3], null, s15, s2, v[0:1]
	s_clause 0x1
	s_load_b128 s[12:15], s[0:1], 0x18
	s_load_b32 s2, s[0:1], 0x2c
	v_mul_hi_u32 v0, v2, s6
	s_delay_alu instid0(VALU_DEP_1) | instskip(NEXT) | instid1(VALU_DEP_1)
	v_add_nc_u32_e32 v0, v2, v0
	v_lshrrev_b32_e32 v1, s7, v0
	s_delay_alu instid0(VALU_DEP_1) | instskip(NEXT) | instid1(VALU_DEP_1)
	v_mul_lo_u32 v0, v1, s8
	v_sub_nc_u32_e32 v0, v2, v0
	s_delay_alu instid0(VALU_DEP_1) | instskip(NEXT) | instid1(VALU_DEP_1)
	v_mul_hi_u32 v2, v0, s9
	v_add_nc_u32_e32 v2, v0, v2
	s_delay_alu instid0(VALU_DEP_1) | instskip(NEXT) | instid1(VALU_DEP_1)
	v_lshrrev_b32_e32 v2, s10, v2
	v_mul_lo_u32 v3, v2, s11
	v_cmp_gt_u32_e64 s3, s4, v2
	v_cmp_gt_u32_e64 s4, s5, v1
	s_delay_alu instid0(VALU_DEP_3) | instskip(SKIP_1) | instid1(VALU_DEP_1)
	v_sub_nc_u32_e32 v0, v0, v3
	s_waitcnt lgkmcnt(0)
	v_mul_hi_u32 v3, v0, s12
	s_delay_alu instid0(VALU_DEP_1) | instskip(NEXT) | instid1(VALU_DEP_1)
	v_add_nc_u32_e32 v3, v0, v3
	v_lshrrev_b32_e32 v3, s13, v3
	s_delay_alu instid0(VALU_DEP_1) | instskip(SKIP_1) | instid1(VALU_DEP_2)
	v_mul_lo_u32 v4, v3, s14
	v_cmp_gt_u32_e64 s2, s2, v3
	v_sub_nc_u32_e32 v0, v0, v4
	s_delay_alu instid0(VALU_DEP_1) | instskip(NEXT) | instid1(VALU_DEP_3)
	v_cmp_gt_u32_e32 vcc_lo, s14, v0
	s_and_b32 s2, vcc_lo, s2
	s_delay_alu instid0(SALU_CYCLE_1) | instskip(NEXT) | instid1(SALU_CYCLE_1)
	s_and_b32 s2, s2, s3
	s_and_b32 s2, s4, s2
	s_delay_alu instid0(SALU_CYCLE_1)
	s_and_saveexec_b32 s3, s2
	s_cbranch_execz .LBB150_5
; %bb.1:
	s_clause 0x4
	s_load_b64 s[2:3], s[0:1], 0x0
	s_load_b128 s[12:15], s[0:1], 0xa8
	s_load_b256 s[20:27], s[0:1], 0x88
	s_load_b128 s[16:19], s[0:1], 0x78
	s_load_b256 s[4:11], s[0:1], 0x58
	s_waitcnt lgkmcnt(0)
	s_cmp_eq_u64 s[2:3], 0
	s_cbranch_scc1 .LBB150_3
; %bb.2:
	v_mul_lo_u32 v4, v1, s26
	v_mul_lo_u32 v6, v2, s25
	;; [unrolled: 1-line block ×3, first 2 shown]
	v_mov_b32_e32 v5, 0
	s_delay_alu instid0(VALU_DEP_2) | instskip(NEXT) | instid1(VALU_DEP_1)
	v_add3_u32 v4, v6, v4, v7
	v_lshlrev_b64 v[6:7], 1, v[4:5]
	v_mul_lo_u32 v4, v0, s23
	s_delay_alu instid0(VALU_DEP_2) | instskip(NEXT) | instid1(VALU_DEP_3)
	v_add_co_u32 v6, vcc_lo, s2, v6
	v_add_co_ci_u32_e32 v7, vcc_lo, s3, v7, vcc_lo
	s_delay_alu instid0(VALU_DEP_3) | instskip(NEXT) | instid1(VALU_DEP_1)
	v_lshlrev_b64 v[4:5], 1, v[4:5]
	v_add_co_u32 v4, vcc_lo, v6, v4
	s_delay_alu instid0(VALU_DEP_2)
	v_add_co_ci_u32_e32 v5, vcc_lo, v7, v5, vcc_lo
	global_load_u16 v4, v[4:5], off
	s_waitcnt vmcnt(0)
	v_cvt_f32_f16_e32 v4, v4
	s_branch .LBB150_4
.LBB150_3:
	v_mov_b32_e32 v4, 0
.LBB150_4:
	v_mul_hi_u32 v5, s17, v1
	v_mul_hi_u32 v6, s10, v2
	;; [unrolled: 1-line block ×4, first 2 shown]
	s_delay_alu instid0(VALU_DEP_4) | instskip(NEXT) | instid1(VALU_DEP_4)
	v_add_nc_u32_e32 v5, v1, v5
	v_add_nc_u32_e32 v6, v2, v6
	s_delay_alu instid0(VALU_DEP_4) | instskip(NEXT) | instid1(VALU_DEP_4)
	v_add_nc_u32_e32 v7, v3, v7
	v_add_nc_u32_e32 v8, v0, v8
	s_delay_alu instid0(VALU_DEP_4) | instskip(NEXT) | instid1(VALU_DEP_4)
	v_lshrrev_b32_e32 v5, s18, v5
	v_lshrrev_b32_e32 v6, s11, v6
	s_delay_alu instid0(VALU_DEP_4) | instskip(NEXT) | instid1(VALU_DEP_4)
	v_lshrrev_b32_e32 v7, s8, v7
	v_lshrrev_b32_e32 v8, s5, v8
	s_delay_alu instid0(VALU_DEP_4) | instskip(NEXT) | instid1(VALU_DEP_4)
	v_mul_lo_u32 v5, v5, s19
	v_mul_lo_u32 v6, v6, s16
	s_delay_alu instid0(VALU_DEP_4) | instskip(NEXT) | instid1(VALU_DEP_4)
	v_mul_lo_u32 v7, v7, s9
	v_mul_lo_u32 v8, v8, s6
	s_delay_alu instid0(VALU_DEP_4) | instskip(NEXT) | instid1(VALU_DEP_4)
	v_sub_nc_u32_e32 v5, v1, v5
	v_sub_nc_u32_e32 v6, v2, v6
	s_delay_alu instid0(VALU_DEP_4) | instskip(NEXT) | instid1(VALU_DEP_4)
	v_sub_nc_u32_e32 v7, v3, v7
	v_sub_nc_u32_e32 v8, v0, v8
	v_mul_lo_u32 v1, v1, s22
	v_mul_lo_u32 v5, v5, s14
	;; [unrolled: 1-line block ×5, first 2 shown]
	s_clause 0x1
	s_load_b512 s[4:19], s[0:1], 0xb8
	s_load_b64 s[0:1], s[0:1], 0x10
	v_mul_lo_u32 v2, v2, s21
	s_delay_alu instid0(VALU_DEP_3) | instskip(NEXT) | instid1(VALU_DEP_3)
	v_add3_u32 v5, v6, v5, v7
	v_ashrrev_i32_e32 v6, 31, v8
	s_delay_alu instid0(VALU_DEP_2) | instskip(SKIP_1) | instid1(VALU_DEP_2)
	v_ashrrev_i32_e32 v7, 31, v5
	v_add_co_u32 v5, vcc_lo, v8, v5
	v_add_co_ci_u32_e32 v6, vcc_lo, v6, v7, vcc_lo
	s_delay_alu instid0(VALU_DEP_1) | instskip(SKIP_1) | instid1(VALU_DEP_1)
	v_lshlrev_b64 v[5:6], 2, v[5:6]
	s_waitcnt lgkmcnt(0)
	v_add_co_u32 v7, vcc_lo, s4, v5
	s_delay_alu instid0(VALU_DEP_2)
	v_add_co_ci_u32_e32 v8, vcc_lo, s5, v6, vcc_lo
	v_add_co_u32 v9, vcc_lo, s6, v5
	v_add_co_ci_u32_e32 v10, vcc_lo, s7, v6, vcc_lo
	global_load_b32 v11, v[7:8], off
	v_add_co_u32 v7, vcc_lo, s8, v5
	v_add_co_ci_u32_e32 v8, vcc_lo, s9, v6, vcc_lo
	global_load_b32 v12, v[9:10], off
	;; [unrolled: 3-line block ×7, first 2 shown]
	global_load_b32 v5, v[5:6], off
	v_mul_lo_u32 v6, v3, s20
	v_mov_b32_e32 v3, 0
	s_delay_alu instid0(VALU_DEP_2) | instskip(NEXT) | instid1(VALU_DEP_2)
	v_add3_u32 v2, v2, v1, v6
	v_mov_b32_e32 v1, v3
	s_delay_alu instid0(VALU_DEP_2) | instskip(NEXT) | instid1(VALU_DEP_2)
	v_lshlrev_b64 v[2:3], 2, v[2:3]
	v_lshlrev_b64 v[0:1], 2, v[0:1]
	s_delay_alu instid0(VALU_DEP_2) | instskip(NEXT) | instid1(VALU_DEP_3)
	v_add_co_u32 v2, vcc_lo, s0, v2
	v_add_co_ci_u32_e32 v3, vcc_lo, s1, v3, vcc_lo
	s_delay_alu instid0(VALU_DEP_2) | instskip(NEXT) | instid1(VALU_DEP_2)
	v_add_co_u32 v0, vcc_lo, v2, v0
	v_add_co_ci_u32_e32 v1, vcc_lo, v3, v1, vcc_lo
	s_waitcnt vmcnt(7)
	v_mul_f32_e32 v4, v4, v11
	s_waitcnt vmcnt(6)
	s_delay_alu instid0(VALU_DEP_1) | instskip(SKIP_1) | instid1(VALU_DEP_1)
	v_mul_f32_e32 v4, v4, v12
	s_waitcnt vmcnt(5)
	v_mul_f32_e32 v4, v4, v13
	s_waitcnt vmcnt(4)
	s_delay_alu instid0(VALU_DEP_1) | instskip(SKIP_1) | instid1(VALU_DEP_1)
	v_mul_f32_e32 v4, v4, v14
	;; [unrolled: 5-line block ×3, first 2 shown]
	s_waitcnt vmcnt(1)
	v_mul_f32_e32 v4, v4, v7
	s_waitcnt vmcnt(0)
	s_delay_alu instid0(VALU_DEP_1)
	v_mul_f32_e32 v4, v4, v5
	global_store_b32 v[0:1], v4, off
.LBB150_5:
	s_nop 0
	s_sendmsg sendmsg(MSG_DEALLOC_VGPRS)
	s_endpgm
	.section	.rodata,"a",@progbits
	.p2align	6, 0x0
	.amdhsa_kernel _ZL19k_bin_bcast_unravelIXadL_ZL6op_mulffEE6__halfffJPKfS2_S2_S2_S2_S2_S2_S2_EEvPKT0_PKT1_PT2_15HIP_vector_typeIjLj3EESC_SC_jSC_SC_SC_SC_SC_SC_iiiiiiiiiiiDpT3_
		.amdhsa_group_segment_fixed_size 0
		.amdhsa_private_segment_fixed_size 0
		.amdhsa_kernarg_size 504
		.amdhsa_user_sgpr_count 15
		.amdhsa_user_sgpr_dispatch_ptr 0
		.amdhsa_user_sgpr_queue_ptr 0
		.amdhsa_user_sgpr_kernarg_segment_ptr 1
		.amdhsa_user_sgpr_dispatch_id 0
		.amdhsa_user_sgpr_private_segment_size 0
		.amdhsa_wavefront_size32 1
		.amdhsa_uses_dynamic_stack 0
		.amdhsa_enable_private_segment 0
		.amdhsa_system_sgpr_workgroup_id_x 1
		.amdhsa_system_sgpr_workgroup_id_y 0
		.amdhsa_system_sgpr_workgroup_id_z 0
		.amdhsa_system_sgpr_workgroup_info 0
		.amdhsa_system_vgpr_workitem_id 0
		.amdhsa_next_free_vgpr 16
		.amdhsa_next_free_sgpr 28
		.amdhsa_reserve_vcc 1
		.amdhsa_float_round_mode_32 0
		.amdhsa_float_round_mode_16_64 0
		.amdhsa_float_denorm_mode_32 3
		.amdhsa_float_denorm_mode_16_64 3
		.amdhsa_dx10_clamp 1
		.amdhsa_ieee_mode 1
		.amdhsa_fp16_overflow 0
		.amdhsa_workgroup_processor_mode 1
		.amdhsa_memory_ordered 1
		.amdhsa_forward_progress 0
		.amdhsa_shared_vgpr_count 0
		.amdhsa_exception_fp_ieee_invalid_op 0
		.amdhsa_exception_fp_denorm_src 0
		.amdhsa_exception_fp_ieee_div_zero 0
		.amdhsa_exception_fp_ieee_overflow 0
		.amdhsa_exception_fp_ieee_underflow 0
		.amdhsa_exception_fp_ieee_inexact 0
		.amdhsa_exception_int_div_zero 0
	.end_amdhsa_kernel
	.section	.text._ZL19k_bin_bcast_unravelIXadL_ZL6op_mulffEE6__halfffJPKfS2_S2_S2_S2_S2_S2_S2_EEvPKT0_PKT1_PT2_15HIP_vector_typeIjLj3EESC_SC_jSC_SC_SC_SC_SC_SC_iiiiiiiiiiiDpT3_,"axG",@progbits,_ZL19k_bin_bcast_unravelIXadL_ZL6op_mulffEE6__halfffJPKfS2_S2_S2_S2_S2_S2_S2_EEvPKT0_PKT1_PT2_15HIP_vector_typeIjLj3EESC_SC_jSC_SC_SC_SC_SC_SC_iiiiiiiiiiiDpT3_,comdat
.Lfunc_end150:
	.size	_ZL19k_bin_bcast_unravelIXadL_ZL6op_mulffEE6__halfffJPKfS2_S2_S2_S2_S2_S2_S2_EEvPKT0_PKT1_PT2_15HIP_vector_typeIjLj3EESC_SC_jSC_SC_SC_SC_SC_SC_iiiiiiiiiiiDpT3_, .Lfunc_end150-_ZL19k_bin_bcast_unravelIXadL_ZL6op_mulffEE6__halfffJPKfS2_S2_S2_S2_S2_S2_S2_EEvPKT0_PKT1_PT2_15HIP_vector_typeIjLj3EESC_SC_jSC_SC_SC_SC_SC_SC_iiiiiiiiiiiDpT3_
                                        ; -- End function
	.section	.AMDGPU.csdata,"",@progbits
; Kernel info:
; codeLenInByte = 1028
; NumSgprs: 30
; NumVgprs: 16
; ScratchSize: 0
; MemoryBound: 0
; FloatMode: 240
; IeeeMode: 1
; LDSByteSize: 0 bytes/workgroup (compile time only)
; SGPRBlocks: 3
; VGPRBlocks: 1
; NumSGPRsForWavesPerEU: 30
; NumVGPRsForWavesPerEU: 16
; Occupancy: 16
; WaveLimiterHint : 1
; COMPUTE_PGM_RSRC2:SCRATCH_EN: 0
; COMPUTE_PGM_RSRC2:USER_SGPR: 15
; COMPUTE_PGM_RSRC2:TRAP_HANDLER: 0
; COMPUTE_PGM_RSRC2:TGID_X_EN: 1
; COMPUTE_PGM_RSRC2:TGID_Y_EN: 0
; COMPUTE_PGM_RSRC2:TGID_Z_EN: 0
; COMPUTE_PGM_RSRC2:TIDIG_COMP_CNT: 0
	.section	.text._ZL11k_bin_bcastIXadL_ZL6op_mulffEE6__halfffJPKfS2_S2_S2_S2_S2_S2_S2_EEvPKT0_PKT1_PT2_iii15HIP_vector_typeIjLj3EESC_SC_SC_SC_iiiiiiiiiiiDpT3_,"axG",@progbits,_ZL11k_bin_bcastIXadL_ZL6op_mulffEE6__halfffJPKfS2_S2_S2_S2_S2_S2_S2_EEvPKT0_PKT1_PT2_iii15HIP_vector_typeIjLj3EESC_SC_SC_SC_iiiiiiiiiiiDpT3_,comdat
	.globl	_ZL11k_bin_bcastIXadL_ZL6op_mulffEE6__halfffJPKfS2_S2_S2_S2_S2_S2_S2_EEvPKT0_PKT1_PT2_iii15HIP_vector_typeIjLj3EESC_SC_SC_SC_iiiiiiiiiiiDpT3_ ; -- Begin function _ZL11k_bin_bcastIXadL_ZL6op_mulffEE6__halfffJPKfS2_S2_S2_S2_S2_S2_S2_EEvPKT0_PKT1_PT2_iii15HIP_vector_typeIjLj3EESC_SC_SC_SC_iiiiiiiiiiiDpT3_
	.p2align	8
	.type	_ZL11k_bin_bcastIXadL_ZL6op_mulffEE6__halfffJPKfS2_S2_S2_S2_S2_S2_S2_EEvPKT0_PKT1_PT2_iii15HIP_vector_typeIjLj3EESC_SC_SC_SC_iiiiiiiiiiiDpT3_,@function
_ZL11k_bin_bcastIXadL_ZL6op_mulffEE6__halfffJPKfS2_S2_S2_S2_S2_S2_S2_EEvPKT0_PKT1_PT2_iii15HIP_vector_typeIjLj3EESC_SC_SC_SC_iiiiiiiiiiiDpT3_: ; @_ZL11k_bin_bcastIXadL_ZL6op_mulffEE6__halfffJPKfS2_S2_S2_S2_S2_S2_S2_EEvPKT0_PKT1_PT2_iii15HIP_vector_typeIjLj3EESC_SC_SC_SC_iiiiiiiiiiiDpT3_
; %bb.0:
	s_clause 0x1
	s_load_b64 s[2:3], s[0:1], 0xdc
	s_load_b256 s[20:27], s[0:1], 0x18
	v_bfe_u32 v1, v0, 20, 10
	s_add_u32 s16, s0, 0xd0
	s_addc_u32 s17, s1, 0
	s_waitcnt lgkmcnt(0)
	s_and_b32 s3, s3, 0xffff
	s_delay_alu instid0(SALU_CYCLE_1) | instskip(SKIP_3) | instid1(VALU_DEP_3)
	v_mad_u64_u32 v[4:5], null, s15, s3, v[1:2]
	v_and_b32_e32 v2, 0x3ff, v0
	v_bfe_u32 v5, v0, 10, 10
	s_lshr_b32 s3, s2, 16
	v_mul_hi_u32 v1, v4, s23
	s_and_b32 s23, s2, 0xffff
	s_delay_alu instid0(VALU_DEP_1) | instskip(NEXT) | instid1(VALU_DEP_1)
	v_add_nc_u32_e32 v1, v4, v1
	v_lshrrev_b32_e32 v3, s24, v1
	s_delay_alu instid0(VALU_DEP_1) | instskip(SKIP_1) | instid1(VALU_DEP_2)
	v_mul_lo_u32 v6, v3, s25
	v_mad_u64_u32 v[0:1], null, s13, s23, v[2:3]
	v_mad_u64_u32 v[1:2], null, s14, s3, v[5:6]
	v_sub_nc_u32_e32 v4, v4, v6
	s_delay_alu instid0(VALU_DEP_3) | instskip(SKIP_1) | instid1(VALU_DEP_3)
	v_cmp_gt_u32_e32 vcc_lo, s20, v0
	v_cmp_gt_u32_e64 s3, s22, v3
	v_cmp_gt_u32_e64 s4, s25, v4
	;; [unrolled: 1-line block ×3, first 2 shown]
	s_delay_alu instid0(VALU_DEP_1)
	s_and_b32 s2, vcc_lo, s2
	s_delay_alu instid0(VALU_DEP_3) | instid1(SALU_CYCLE_1)
	s_and_b32 s2, s2, s3
	s_delay_alu instid0(VALU_DEP_2) | instid1(SALU_CYCLE_1)
	s_and_b32 s2, s2, s4
	s_delay_alu instid0(SALU_CYCLE_1)
	s_and_saveexec_b32 s3, s2
	s_cbranch_execz .LBB151_6
; %bb.1:
	v_cmp_gt_i32_e32 vcc_lo, s20, v0
	s_and_b32 exec_lo, exec_lo, vcc_lo
	s_cbranch_execz .LBB151_6
; %bb.2:
	s_clause 0x2
	s_load_b256 s[4:11], s[0:1], 0x3c
	s_load_b256 s[36:43], s[0:1], 0x60
	s_load_b128 s[28:31], s[0:1], 0x80
	s_load_b32 s21, s[16:17], 0x0
	s_clause 0x3
	s_load_b32 s12, s[0:1], 0x5c
	s_load_b64 s[2:3], s[0:1], 0x0
	s_load_b32 s22, s[0:1], 0x38
	s_load_b64 s[24:25], s[0:1], 0x10
	s_waitcnt lgkmcnt(0)
	v_mul_hi_u32 v2, s4, v1
	v_mul_hi_u32 v5, s7, v3
	;; [unrolled: 1-line block ×3, first 2 shown]
	v_mul_lo_u32 v9, v4, s42
	v_mul_lo_u32 v10, v3, s41
	;; [unrolled: 1-line block ×3, first 2 shown]
	v_mov_b32_e32 v6, 0
	v_mul_lo_u32 v12, v4, s38
	v_add_nc_u32_e32 v2, v1, v2
	v_add_nc_u32_e32 v5, v3, v5
	s_delay_alu instid0(VALU_DEP_4) | instskip(SKIP_1) | instid1(VALU_DEP_4)
	v_dual_mov_b32 v8, v6 :: v_dual_add_nc_u32 v7, v4, v7
	v_mul_lo_u32 v13, v3, s37
	v_lshrrev_b32_e32 v2, s5, v2
	s_delay_alu instid0(VALU_DEP_4) | instskip(NEXT) | instid1(VALU_DEP_4)
	v_lshrrev_b32_e32 v15, s8, v5
	v_lshrrev_b32_e32 v16, s11, v7
	v_add3_u32 v5, v10, v11, v9
	v_mul_lo_u32 v14, v1, s36
	v_mul_lo_u32 v9, v2, s6
	;; [unrolled: 1-line block ×4, first 2 shown]
	v_lshlrev_b64 v[5:6], 1, v[5:6]
	s_load_b512 s[4:19], s[0:1], 0x90
	s_cmp_lg_u64 s[2:3], 0
	v_mul_lo_u32 v2, s39, v0
	v_add3_u32 v7, v13, v14, v12
	v_sub_nc_u32_e32 v1, v1, v9
	v_sub_nc_u32_e32 v3, v3, v10
	v_sub_nc_u32_e32 v4, v4, v11
	v_add_co_u32 v9, vcc_lo, s2, v5
	v_add_co_ci_u32_e32 v5, vcc_lo, s3, v6, vcc_lo
	v_lshlrev_b64 v[7:8], 2, v[7:8]
	s_delay_alu instid0(VALU_DEP_4)
	v_mul_lo_u32 v10, v4, s30
	v_mul_lo_u32 v3, v3, s29
	;; [unrolled: 1-line block ×3, first 2 shown]
	s_cselect_b32 vcc_lo, -1, 0
	s_mul_i32 s2, s21, s23
	v_cndmask_b32_e32 v5, 0, v5, vcc_lo
	v_cndmask_b32_e32 v4, 0, v9, vcc_lo
	v_add_co_u32 v6, vcc_lo, s24, v7
	v_add_co_ci_u32_e32 v7, vcc_lo, s25, v8, vcc_lo
	s_delay_alu instid0(VALU_DEP_3)
	v_cmp_ne_u64_e32 vcc_lo, 0, v[4:5]
	v_add3_u32 v8, v3, v10, v1
	s_mov_b32 s3, 0
	s_mul_i32 s21, s2, s39
	s_sub_i32 s22, 0, s22
	s_branch .LBB151_4
.LBB151_3:                              ;   in Loop: Header=BB151_4 Depth=1
	s_or_b32 exec_lo, exec_lo, s1
	v_mul_hi_u32 v3, s26, v0
	v_add_nc_u32_e32 v2, s21, v2
	s_delay_alu instid0(VALU_DEP_2) | instskip(NEXT) | instid1(VALU_DEP_1)
	v_add_nc_u32_e32 v3, v0, v3
	v_lshrrev_b32_e32 v3, s27, v3
	s_delay_alu instid0(VALU_DEP_1) | instskip(NEXT) | instid1(VALU_DEP_1)
	v_mad_u64_u32 v[9:10], null, s22, v3, v[0:1]
	v_mul_lo_u32 v3, v9, s43
	s_delay_alu instid0(VALU_DEP_1) | instskip(NEXT) | instid1(VALU_DEP_1)
	v_add_co_u32 v9, s0, v3, v8
	v_add_co_ci_u32_e64 v10, null, 0, 0, s0
	s_delay_alu instid0(VALU_DEP_1) | instskip(SKIP_1) | instid1(VALU_DEP_1)
	v_lshlrev_b64 v[9:10], 2, v[9:10]
	s_waitcnt lgkmcnt(0)
	v_add_co_u32 v11, s0, s4, v9
	s_delay_alu instid0(VALU_DEP_1) | instskip(SKIP_1) | instid1(VALU_DEP_1)
	v_add_co_ci_u32_e64 v12, s0, s5, v10, s0
	v_add_co_u32 v13, s0, s6, v9
	v_add_co_ci_u32_e64 v14, s0, s7, v10, s0
	global_load_b32 v3, v[11:12], off
	v_add_co_u32 v11, s0, s8, v9
	s_delay_alu instid0(VALU_DEP_1) | instskip(SKIP_2) | instid1(VALU_DEP_1)
	v_add_co_ci_u32_e64 v12, s0, s9, v10, s0
	global_load_b32 v15, v[13:14], off
	v_add_co_u32 v13, s0, s10, v9
	v_add_co_ci_u32_e64 v14, s0, s11, v10, s0
	global_load_b32 v16, v[11:12], off
	v_add_co_u32 v11, s0, s12, v9
	s_delay_alu instid0(VALU_DEP_1) | instskip(SKIP_2) | instid1(VALU_DEP_1)
	v_add_co_ci_u32_e64 v12, s0, s13, v10, s0
	global_load_b32 v17, v[13:14], off
	;; [unrolled: 7-line block ×3, first 2 shown]
	v_add_co_u32 v9, s0, s18, v9
	v_add_co_ci_u32_e64 v10, s0, s19, v10, s0
	global_load_b32 v11, v[11:12], off
	global_load_b32 v12, v[9:10], off
	s_waitcnt vmcnt(7)
	v_mul_f32_e32 v1, v1, v3
	s_waitcnt vmcnt(6)
	s_delay_alu instid0(VALU_DEP_1) | instskip(SKIP_1) | instid1(VALU_DEP_1)
	v_mul_f32_e32 v1, v1, v15
	s_waitcnt vmcnt(5)
	v_mul_f32_e32 v1, v1, v16
	s_waitcnt vmcnt(4)
	s_delay_alu instid0(VALU_DEP_1) | instskip(SKIP_1) | instid1(VALU_DEP_1)
	v_mul_f32_e32 v1, v1, v17
	s_waitcnt vmcnt(3)
	v_mul_f32_e32 v3, v1, v18
	v_ashrrev_i32_e32 v1, 31, v0
	s_waitcnt vmcnt(2)
	s_delay_alu instid0(VALU_DEP_2) | instskip(NEXT) | instid1(VALU_DEP_2)
	v_mul_f32_e32 v3, v3, v13
	v_lshlrev_b64 v[9:10], 2, v[0:1]
	s_waitcnt vmcnt(1)
	s_delay_alu instid0(VALU_DEP_2) | instskip(NEXT) | instid1(VALU_DEP_1)
	v_dual_mul_f32 v1, v3, v11 :: v_dual_add_nc_u32 v0, s2, v0
	v_cmp_le_i32_e64 s0, s20, v0
	s_delay_alu instid0(VALU_DEP_3) | instskip(NEXT) | instid1(VALU_DEP_1)
	v_add_co_u32 v9, s1, v6, v9
	v_add_co_ci_u32_e64 v10, s1, v7, v10, s1
	s_waitcnt vmcnt(0)
	v_mul_f32_e32 v1, v1, v12
	s_or_b32 s3, s0, s3
	global_store_b32 v[9:10], v1, off
	s_and_not1_b32 exec_lo, exec_lo, s3
	s_cbranch_execz .LBB151_6
.LBB151_4:                              ; =>This Inner Loop Header: Depth=1
	v_mov_b32_e32 v1, 0
	s_and_saveexec_b32 s1, vcc_lo
	s_cbranch_execz .LBB151_3
; %bb.5:                                ;   in Loop: Header=BB151_4 Depth=1
	v_ashrrev_i32_e32 v3, 31, v2
	s_delay_alu instid0(VALU_DEP_1) | instskip(NEXT) | instid1(VALU_DEP_1)
	v_lshlrev_b64 v[9:10], 1, v[2:3]
	v_add_co_u32 v9, s0, v4, v9
	s_delay_alu instid0(VALU_DEP_1)
	v_add_co_ci_u32_e64 v10, s0, v5, v10, s0
	global_load_u16 v1, v[9:10], off
	s_waitcnt vmcnt(0)
	v_cvt_f32_f16_e32 v1, v1
	s_branch .LBB151_3
.LBB151_6:
	s_nop 0
	s_sendmsg sendmsg(MSG_DEALLOC_VGPRS)
	s_endpgm
	.section	.rodata,"a",@progbits
	.p2align	6, 0x0
	.amdhsa_kernel _ZL11k_bin_bcastIXadL_ZL6op_mulffEE6__halfffJPKfS2_S2_S2_S2_S2_S2_S2_EEvPKT0_PKT1_PT2_iii15HIP_vector_typeIjLj3EESC_SC_SC_SC_iiiiiiiiiiiDpT3_
		.amdhsa_group_segment_fixed_size 0
		.amdhsa_private_segment_fixed_size 0
		.amdhsa_kernarg_size 464
		.amdhsa_user_sgpr_count 13
		.amdhsa_user_sgpr_dispatch_ptr 0
		.amdhsa_user_sgpr_queue_ptr 0
		.amdhsa_user_sgpr_kernarg_segment_ptr 1
		.amdhsa_user_sgpr_dispatch_id 0
		.amdhsa_user_sgpr_private_segment_size 0
		.amdhsa_wavefront_size32 1
		.amdhsa_uses_dynamic_stack 0
		.amdhsa_enable_private_segment 0
		.amdhsa_system_sgpr_workgroup_id_x 1
		.amdhsa_system_sgpr_workgroup_id_y 1
		.amdhsa_system_sgpr_workgroup_id_z 1
		.amdhsa_system_sgpr_workgroup_info 0
		.amdhsa_system_vgpr_workitem_id 2
		.amdhsa_next_free_vgpr 19
		.amdhsa_next_free_sgpr 44
		.amdhsa_reserve_vcc 1
		.amdhsa_float_round_mode_32 0
		.amdhsa_float_round_mode_16_64 0
		.amdhsa_float_denorm_mode_32 3
		.amdhsa_float_denorm_mode_16_64 3
		.amdhsa_dx10_clamp 1
		.amdhsa_ieee_mode 1
		.amdhsa_fp16_overflow 0
		.amdhsa_workgroup_processor_mode 1
		.amdhsa_memory_ordered 1
		.amdhsa_forward_progress 0
		.amdhsa_shared_vgpr_count 0
		.amdhsa_exception_fp_ieee_invalid_op 0
		.amdhsa_exception_fp_denorm_src 0
		.amdhsa_exception_fp_ieee_div_zero 0
		.amdhsa_exception_fp_ieee_overflow 0
		.amdhsa_exception_fp_ieee_underflow 0
		.amdhsa_exception_fp_ieee_inexact 0
		.amdhsa_exception_int_div_zero 0
	.end_amdhsa_kernel
	.section	.text._ZL11k_bin_bcastIXadL_ZL6op_mulffEE6__halfffJPKfS2_S2_S2_S2_S2_S2_S2_EEvPKT0_PKT1_PT2_iii15HIP_vector_typeIjLj3EESC_SC_SC_SC_iiiiiiiiiiiDpT3_,"axG",@progbits,_ZL11k_bin_bcastIXadL_ZL6op_mulffEE6__halfffJPKfS2_S2_S2_S2_S2_S2_S2_EEvPKT0_PKT1_PT2_iii15HIP_vector_typeIjLj3EESC_SC_SC_SC_iiiiiiiiiiiDpT3_,comdat
.Lfunc_end151:
	.size	_ZL11k_bin_bcastIXadL_ZL6op_mulffEE6__halfffJPKfS2_S2_S2_S2_S2_S2_S2_EEvPKT0_PKT1_PT2_iii15HIP_vector_typeIjLj3EESC_SC_SC_SC_iiiiiiiiiiiDpT3_, .Lfunc_end151-_ZL11k_bin_bcastIXadL_ZL6op_mulffEE6__halfffJPKfS2_S2_S2_S2_S2_S2_S2_EEvPKT0_PKT1_PT2_iii15HIP_vector_typeIjLj3EESC_SC_SC_SC_iiiiiiiiiiiDpT3_
                                        ; -- End function
	.section	.AMDGPU.csdata,"",@progbits
; Kernel info:
; codeLenInByte = 1116
; NumSgprs: 46
; NumVgprs: 19
; ScratchSize: 0
; MemoryBound: 0
; FloatMode: 240
; IeeeMode: 1
; LDSByteSize: 0 bytes/workgroup (compile time only)
; SGPRBlocks: 5
; VGPRBlocks: 2
; NumSGPRsForWavesPerEU: 46
; NumVGPRsForWavesPerEU: 19
; Occupancy: 16
; WaveLimiterHint : 1
; COMPUTE_PGM_RSRC2:SCRATCH_EN: 0
; COMPUTE_PGM_RSRC2:USER_SGPR: 13
; COMPUTE_PGM_RSRC2:TRAP_HANDLER: 0
; COMPUTE_PGM_RSRC2:TGID_X_EN: 1
; COMPUTE_PGM_RSRC2:TGID_Y_EN: 1
; COMPUTE_PGM_RSRC2:TGID_Z_EN: 1
; COMPUTE_PGM_RSRC2:TIDIG_COMP_CNT: 2
	.section	.text._ZL13k_repeat_backIfEvPKT_PS0_llllmmmmllll,"axG",@progbits,_ZL13k_repeat_backIfEvPKT_PS0_llllmmmmllll,comdat
	.globl	_ZL13k_repeat_backIfEvPKT_PS0_llllmmmmllll ; -- Begin function _ZL13k_repeat_backIfEvPKT_PS0_llllmmmmllll
	.p2align	8
	.type	_ZL13k_repeat_backIfEvPKT_PS0_llllmmmmllll,@function
_ZL13k_repeat_backIfEvPKT_PS0_llllmmmmllll: ; @_ZL13k_repeat_backIfEvPKT_PS0_llllmmmmllll
; %bb.0:
	s_clause 0x1
	s_load_b64 s[34:35], s[0:1], 0x7c
	s_load_b256 s[4:11], s[0:1], 0x50
	v_mov_b32_e32 v4, 0
	v_bfe_u32 v3, v0, 20, 10
	s_waitcnt lgkmcnt(0)
	s_and_b32 s2, s35, 0xffff
	s_delay_alu instid0(VALU_DEP_1) | instid1(SALU_CYCLE_1)
	v_mad_u64_u32 v[1:2], null, s2, s15, v[3:4]
	s_delay_alu instid0(VALU_DEP_1) | instskip(NEXT) | instid1(VALU_DEP_1)
	v_or_b32_e32 v5, s9, v2
	v_cmp_ne_u64_e32 vcc_lo, 0, v[4:5]
                                        ; implicit-def: $vgpr3_vgpr4
	s_and_saveexec_b32 s2, vcc_lo
	s_delay_alu instid0(SALU_CYCLE_1)
	s_xor_b32 s3, exec_lo, s2
	s_cbranch_execz .LBB152_2
; %bb.1:
	s_ashr_i32 s16, s9, 31
	s_delay_alu instid0(SALU_CYCLE_1) | instskip(SKIP_2) | instid1(SALU_CYCLE_1)
	s_add_u32 s18, s8, s16
	s_mov_b32 s17, s16
	s_addc_u32 s19, s9, s16
	s_xor_b64 s[18:19], s[18:19], s[16:17]
	s_delay_alu instid0(SALU_CYCLE_1) | instskip(SKIP_3) | instid1(VALU_DEP_1)
	v_cvt_f32_u32_e32 v3, s18
	v_cvt_f32_u32_e32 v4, s19
	s_sub_u32 s2, 0, s18
	s_subb_u32 s12, 0, s19
	v_fmamk_f32 v3, v4, 0x4f800000, v3
	s_delay_alu instid0(VALU_DEP_1) | instskip(SKIP_2) | instid1(VALU_DEP_1)
	v_rcp_f32_e32 v3, v3
	s_waitcnt_depctr 0xfff
	v_mul_f32_e32 v3, 0x5f7ffffc, v3
	v_mul_f32_e32 v4, 0x2f800000, v3
	s_delay_alu instid0(VALU_DEP_1) | instskip(NEXT) | instid1(VALU_DEP_1)
	v_trunc_f32_e32 v4, v4
	v_fmamk_f32 v3, v4, 0xcf800000, v3
	v_cvt_u32_f32_e32 v4, v4
	s_delay_alu instid0(VALU_DEP_2) | instskip(NEXT) | instid1(VALU_DEP_2)
	v_cvt_u32_f32_e32 v3, v3
	v_mul_lo_u32 v5, s2, v4
	s_delay_alu instid0(VALU_DEP_2) | instskip(SKIP_1) | instid1(VALU_DEP_2)
	v_mul_hi_u32 v6, s2, v3
	v_mul_lo_u32 v7, s12, v3
	v_add_nc_u32_e32 v5, v6, v5
	v_mul_lo_u32 v6, s2, v3
	s_delay_alu instid0(VALU_DEP_2) | instskip(NEXT) | instid1(VALU_DEP_2)
	v_add_nc_u32_e32 v5, v5, v7
	v_mul_hi_u32 v7, v3, v6
	s_delay_alu instid0(VALU_DEP_2)
	v_mul_lo_u32 v8, v3, v5
	v_mul_hi_u32 v9, v3, v5
	v_mul_hi_u32 v10, v4, v6
	v_mul_lo_u32 v6, v4, v6
	v_mul_hi_u32 v11, v4, v5
	v_mul_lo_u32 v5, v4, v5
	v_add_co_u32 v7, vcc_lo, v7, v8
	v_add_co_ci_u32_e32 v8, vcc_lo, 0, v9, vcc_lo
	s_delay_alu instid0(VALU_DEP_2) | instskip(NEXT) | instid1(VALU_DEP_2)
	v_add_co_u32 v6, vcc_lo, v7, v6
	v_add_co_ci_u32_e32 v6, vcc_lo, v8, v10, vcc_lo
	v_add_co_ci_u32_e32 v7, vcc_lo, 0, v11, vcc_lo
	v_ashrrev_i32_e32 v10, 31, v2
	s_delay_alu instid0(VALU_DEP_3) | instskip(NEXT) | instid1(VALU_DEP_3)
	v_add_co_u32 v5, vcc_lo, v6, v5
	v_add_co_ci_u32_e32 v6, vcc_lo, 0, v7, vcc_lo
	s_delay_alu instid0(VALU_DEP_2) | instskip(NEXT) | instid1(VALU_DEP_2)
	v_add_co_u32 v3, vcc_lo, v3, v5
	v_add_co_ci_u32_e32 v4, vcc_lo, v4, v6, vcc_lo
	s_delay_alu instid0(VALU_DEP_2) | instskip(SKIP_1) | instid1(VALU_DEP_3)
	v_mul_hi_u32 v5, s2, v3
	v_mul_lo_u32 v7, s12, v3
	v_mul_lo_u32 v6, s2, v4
	s_delay_alu instid0(VALU_DEP_1) | instskip(SKIP_1) | instid1(VALU_DEP_2)
	v_add_nc_u32_e32 v5, v5, v6
	v_mul_lo_u32 v6, s2, v3
	v_add_nc_u32_e32 v5, v5, v7
	s_delay_alu instid0(VALU_DEP_2) | instskip(NEXT) | instid1(VALU_DEP_2)
	v_mul_hi_u32 v7, v3, v6
	v_mul_lo_u32 v8, v3, v5
	v_mul_hi_u32 v9, v3, v5
	v_mul_hi_u32 v11, v4, v6
	v_mul_lo_u32 v6, v4, v6
	v_mul_hi_u32 v12, v4, v5
	v_mul_lo_u32 v5, v4, v5
	v_add_co_u32 v7, vcc_lo, v7, v8
	v_add_co_ci_u32_e32 v8, vcc_lo, 0, v9, vcc_lo
	s_delay_alu instid0(VALU_DEP_2) | instskip(NEXT) | instid1(VALU_DEP_2)
	v_add_co_u32 v6, vcc_lo, v7, v6
	v_add_co_ci_u32_e32 v6, vcc_lo, v8, v11, vcc_lo
	v_add_co_ci_u32_e32 v7, vcc_lo, 0, v12, vcc_lo
	v_add_co_u32 v8, vcc_lo, v1, v10
	v_add_co_ci_u32_e32 v9, vcc_lo, v2, v10, vcc_lo
	s_delay_alu instid0(VALU_DEP_4) | instskip(NEXT) | instid1(VALU_DEP_4)
	v_add_co_u32 v5, vcc_lo, v6, v5
	v_add_co_ci_u32_e32 v6, vcc_lo, 0, v7, vcc_lo
	s_delay_alu instid0(VALU_DEP_4) | instskip(NEXT) | instid1(VALU_DEP_3)
	v_xor_b32_e32 v11, v8, v10
	v_add_co_u32 v7, vcc_lo, v3, v5
	s_delay_alu instid0(VALU_DEP_3) | instskip(SKIP_1) | instid1(VALU_DEP_3)
	v_add_co_ci_u32_e32 v12, vcc_lo, v4, v6, vcc_lo
	v_xor_b32_e32 v9, v9, v10
	v_mul_hi_u32 v13, v11, v7
	s_delay_alu instid0(VALU_DEP_3) | instskip(NEXT) | instid1(VALU_DEP_3)
	v_mad_u64_u32 v[3:4], null, v11, v12, 0
	v_mad_u64_u32 v[5:6], null, v9, v7, 0
	;; [unrolled: 1-line block ×3, first 2 shown]
	s_delay_alu instid0(VALU_DEP_3) | instskip(NEXT) | instid1(VALU_DEP_4)
	v_add_co_u32 v3, vcc_lo, v13, v3
	v_add_co_ci_u32_e32 v4, vcc_lo, 0, v4, vcc_lo
	s_delay_alu instid0(VALU_DEP_2) | instskip(NEXT) | instid1(VALU_DEP_2)
	v_add_co_u32 v3, vcc_lo, v3, v5
	v_add_co_ci_u32_e32 v3, vcc_lo, v4, v6, vcc_lo
	v_add_co_ci_u32_e32 v4, vcc_lo, 0, v8, vcc_lo
	s_delay_alu instid0(VALU_DEP_2) | instskip(NEXT) | instid1(VALU_DEP_2)
	v_add_co_u32 v5, vcc_lo, v3, v7
	v_add_co_ci_u32_e32 v6, vcc_lo, 0, v4, vcc_lo
	s_delay_alu instid0(VALU_DEP_2) | instskip(SKIP_1) | instid1(VALU_DEP_3)
	v_mul_lo_u32 v7, s19, v5
	v_mad_u64_u32 v[3:4], null, s18, v5, 0
	v_mul_lo_u32 v8, s18, v6
	s_delay_alu instid0(VALU_DEP_2) | instskip(NEXT) | instid1(VALU_DEP_2)
	v_sub_co_u32 v3, vcc_lo, v11, v3
	v_add3_u32 v4, v4, v8, v7
	s_delay_alu instid0(VALU_DEP_1) | instskip(NEXT) | instid1(VALU_DEP_1)
	v_sub_nc_u32_e32 v7, v9, v4
	v_subrev_co_ci_u32_e64 v7, s2, s19, v7, vcc_lo
	v_add_co_u32 v8, s2, v5, 2
	s_delay_alu instid0(VALU_DEP_1) | instskip(SKIP_3) | instid1(VALU_DEP_3)
	v_add_co_ci_u32_e64 v11, s2, 0, v6, s2
	v_sub_co_u32 v12, s2, v3, s18
	v_sub_co_ci_u32_e32 v4, vcc_lo, v9, v4, vcc_lo
	v_subrev_co_ci_u32_e64 v7, s2, 0, v7, s2
	v_cmp_le_u32_e32 vcc_lo, s18, v12
	s_delay_alu instid0(VALU_DEP_3) | instskip(SKIP_1) | instid1(VALU_DEP_4)
	v_cmp_eq_u32_e64 s2, s19, v4
	v_cndmask_b32_e64 v9, 0, -1, vcc_lo
	v_cmp_le_u32_e32 vcc_lo, s19, v7
	v_cndmask_b32_e64 v12, 0, -1, vcc_lo
	v_cmp_le_u32_e32 vcc_lo, s18, v3
	;; [unrolled: 2-line block ×3, first 2 shown]
	v_cndmask_b32_e64 v13, 0, -1, vcc_lo
	v_cmp_eq_u32_e32 vcc_lo, s19, v7
	s_delay_alu instid0(VALU_DEP_2) | instskip(SKIP_3) | instid1(VALU_DEP_3)
	v_cndmask_b32_e64 v3, v13, v3, s2
	v_cndmask_b32_e32 v7, v12, v9, vcc_lo
	v_add_co_u32 v9, vcc_lo, v5, 1
	v_add_co_ci_u32_e32 v12, vcc_lo, 0, v6, vcc_lo
	v_cmp_ne_u32_e32 vcc_lo, 0, v7
	s_delay_alu instid0(VALU_DEP_2) | instskip(SKIP_2) | instid1(VALU_DEP_3)
	v_dual_cndmask_b32 v4, v12, v11 :: v_dual_cndmask_b32 v7, v9, v8
	v_cmp_ne_u32_e32 vcc_lo, 0, v3
	v_xor_b32_e32 v8, s16, v10
	v_dual_cndmask_b32 v3, v6, v4 :: v_dual_cndmask_b32 v4, v5, v7
	s_delay_alu instid0(VALU_DEP_1) | instskip(NEXT) | instid1(VALU_DEP_2)
	v_xor_b32_e32 v5, v3, v8
	v_xor_b32_e32 v4, v4, v8
	s_delay_alu instid0(VALU_DEP_1) | instskip(NEXT) | instid1(VALU_DEP_3)
	v_sub_co_u32 v3, vcc_lo, v4, v8
	v_sub_co_ci_u32_e32 v4, vcc_lo, v5, v8, vcc_lo
.LBB152_2:
	s_and_not1_saveexec_b32 s2, s3
	s_cbranch_execz .LBB152_4
; %bb.3:
	v_cvt_f32_u32_e32 v3, s8
	s_sub_i32 s3, 0, s8
	s_delay_alu instid0(VALU_DEP_1) | instskip(SKIP_2) | instid1(VALU_DEP_1)
	v_rcp_iflag_f32_e32 v3, v3
	s_waitcnt_depctr 0xfff
	v_mul_f32_e32 v3, 0x4f7ffffe, v3
	v_cvt_u32_f32_e32 v3, v3
	s_delay_alu instid0(VALU_DEP_1) | instskip(NEXT) | instid1(VALU_DEP_1)
	v_mul_lo_u32 v4, s3, v3
	v_mul_hi_u32 v4, v3, v4
	s_delay_alu instid0(VALU_DEP_1) | instskip(NEXT) | instid1(VALU_DEP_1)
	v_add_nc_u32_e32 v3, v3, v4
	v_mul_hi_u32 v3, v1, v3
	s_delay_alu instid0(VALU_DEP_1) | instskip(SKIP_1) | instid1(VALU_DEP_2)
	v_mul_lo_u32 v4, v3, s8
	v_add_nc_u32_e32 v5, 1, v3
	v_sub_nc_u32_e32 v4, v1, v4
	s_delay_alu instid0(VALU_DEP_1) | instskip(SKIP_1) | instid1(VALU_DEP_2)
	v_subrev_nc_u32_e32 v6, s8, v4
	v_cmp_le_u32_e32 vcc_lo, s8, v4
	v_dual_cndmask_b32 v4, v4, v6 :: v_dual_cndmask_b32 v3, v3, v5
	s_delay_alu instid0(VALU_DEP_1) | instskip(NEXT) | instid1(VALU_DEP_2)
	v_cmp_le_u32_e32 vcc_lo, s8, v4
	v_dual_mov_b32 v4, 0 :: v_dual_add_nc_u32 v5, 1, v3
	s_delay_alu instid0(VALU_DEP_1)
	v_cndmask_b32_e32 v3, v3, v5, vcc_lo
.LBB152_4:
	s_or_b32 exec_lo, exec_lo, s2
	v_dual_mov_b32 v11, 0 :: v_dual_and_b32 v10, 0x3ff, v0
	s_and_b32 s2, s34, 0xffff
	s_delay_alu instid0(VALU_DEP_1) | instid1(SALU_CYCLE_1)
	v_mad_u64_u32 v[5:6], null, s2, s13, v[10:11]
	s_mov_b32 s2, exec_lo
	s_delay_alu instid0(VALU_DEP_1)
	v_cmpx_gt_i64_e64 s[4:5], v[5:6]
	s_cbranch_execz .LBB152_22
; %bb.5:
	s_clause 0x1
	s_load_b512 s[16:31], s[0:1], 0x10
	s_load_b64 s[12:13], s[0:1], 0x8
	v_bfe_u32 v10, v0, 10, 10
	s_lshr_b32 s2, s34, 16
	s_mov_b32 s33, exec_lo
	s_delay_alu instid0(VALU_DEP_1)
	v_mad_u64_u32 v[7:8], null, s2, s14, v[10:11]
	s_waitcnt lgkmcnt(0)
	v_cmpx_gt_i64_e64 s[22:23], v[3:4]
	s_cbranch_execz .LBB152_21
; %bb.6:
	v_mul_lo_u32 v0, v4, s8
	v_mul_lo_u32 v13, v3, s9
	v_mad_u64_u32 v[9:10], null, v3, s8, 0
	v_mul_lo_u32 v19, v4, s30
	v_mul_lo_u32 v20, v3, s31
	v_mad_u64_u32 v[11:12], null, v3, s30, 0
	v_mul_lo_u32 v21, s27, v7
	v_mad_u64_u32 v[15:16], null, s26, v7, 0
	v_add3_u32 v0, v10, v13, v0
	v_sub_co_u32 v9, vcc_lo, v1, v9
	v_add3_u32 v12, v12, v20, v19
	v_mul_lo_u32 v24, s25, v5
	s_delay_alu instid0(VALU_DEP_4) | instskip(NEXT) | instid1(VALU_DEP_4)
	v_sub_co_ci_u32_e32 v10, vcc_lo, v2, v0, vcc_lo
	v_mul_lo_u32 v22, s29, v9
	v_mad_u64_u32 v[13:14], null, s28, v9, 0
	s_delay_alu instid0(VALU_DEP_3)
	v_mul_lo_u32 v23, s28, v10
	v_mul_lo_u32 v0, s26, v8
	;; [unrolled: 1-line block ×3, first 2 shown]
	v_mad_u64_u32 v[17:18], null, s24, v5, 0
	v_lshlrev_b64 v[11:12], 2, v[11:12]
	s_load_b64 s[14:15], s[0:1], 0x0
	s_mul_i32 s3, s10, s31
	v_add3_u32 v14, v14, v23, v22
	v_add3_u32 v16, v16, v0, v21
	s_mul_hi_u32 s31, s10, s30
	s_delay_alu instid0(VALU_DEP_4)
	v_add3_u32 v18, v18, v25, v24
	s_add_i32 s3, s31, s3
	v_lshlrev_b64 v[13:14], 2, v[13:14]
	v_lshlrev_b64 v[15:16], 2, v[15:16]
	s_mul_i32 s31, s11, s30
	v_lshlrev_b64 v[17:18], 2, v[17:18]
	s_add_i32 s3, s3, s31
	s_mul_i32 s27, s6, s27
	v_add_co_u32 v0, s1, v11, v13
	s_delay_alu instid0(VALU_DEP_1) | instskip(SKIP_1) | instid1(VALU_DEP_2)
	v_add_co_ci_u32_e64 v11, s1, v12, v14, s1
	s_mul_i32 s25, s4, s25
	v_add_co_u32 v0, s2, v0, v15
	s_delay_alu instid0(VALU_DEP_1) | instskip(SKIP_1) | instid1(VALU_DEP_3)
	v_add_co_ci_u32_e64 v11, s2, v11, v16, s2
	v_cmp_gt_i64_e32 vcc_lo, s[18:19], v[7:8]
	v_add_co_u32 v0, s2, v0, v17
	s_delay_alu instid0(VALU_DEP_1) | instskip(SKIP_2) | instid1(VALU_DEP_3)
	v_add_co_ci_u32_e64 v11, s2, v11, v18, s2
	v_cmp_gt_i64_e64 s0, s[16:17], v[5:6]
	s_waitcnt lgkmcnt(0)
	v_add_co_u32 v12, s2, s14, v0
	s_delay_alu instid0(VALU_DEP_1)
	v_add_co_ci_u32_e64 v13, s2, s15, v11, s2
	s_mul_i32 s14, s8, s29
	s_mul_hi_u32 s15, s8, s28
	s_mul_i32 s2, s10, s30
	s_add_i32 s29, s15, s14
	s_mul_i32 s30, s9, s28
	s_lshl_b64 s[14:15], s[2:3], 2
	s_add_i32 s3, s29, s30
	s_mul_i32 s2, s8, s28
	s_mul_hi_u32 s30, s6, s26
	s_lshl_b64 s[28:29], s[2:3], 2
	s_add_i32 s2, s30, s27
	s_mul_hi_u32 s27, s4, s24
	v_cmp_gt_i64_e64 s1, s[20:21], v[9:10]
	s_mul_i32 s3, s7, s26
	s_add_i32 s25, s27, s25
	s_mul_i32 s27, s5, s24
	v_mov_b32_e32 v11, 0
	s_add_i32 s3, s2, s3
	s_mul_i32 s2, s6, s26
	s_add_i32 s27, s25, s27
	s_mul_i32 s26, s4, s24
	s_lshl_b64 s[24:25], s[2:3], 2
	s_lshl_b64 s[26:27], s[26:27], 2
	s_mov_b32 s30, 0
	s_branch .LBB152_9
.LBB152_7:                              ;   in Loop: Header=BB152_9 Depth=1
	s_or_b32 exec_lo, exec_lo, s34
.LBB152_8:                              ;   in Loop: Header=BB152_9 Depth=1
	s_delay_alu instid0(SALU_CYCLE_1) | instskip(SKIP_1) | instid1(VALU_DEP_1)
	s_or_b32 exec_lo, exec_lo, s31
	v_add_co_u32 v3, s2, v3, s10
	v_add_co_ci_u32_e64 v4, s2, s11, v4, s2
	v_add_co_u32 v12, s3, v12, s14
	s_delay_alu instid0(VALU_DEP_1) | instskip(NEXT) | instid1(VALU_DEP_3)
	v_add_co_ci_u32_e64 v13, s3, s15, v13, s3
	v_cmp_le_i64_e64 s2, s[22:23], v[3:4]
	s_delay_alu instid0(VALU_DEP_1) | instskip(NEXT) | instid1(SALU_CYCLE_1)
	s_or_b32 s30, s2, s30
	s_and_not1_b32 exec_lo, exec_lo, s30
	s_cbranch_execz .LBB152_20
.LBB152_9:                              ; =>This Loop Header: Depth=1
                                        ;     Child Loop BB152_13 Depth 2
                                        ;       Child Loop BB152_16 Depth 3
                                        ;         Child Loop BB152_18 Depth 4
	s_and_saveexec_b32 s31, s1
	s_cbranch_execz .LBB152_8
; %bb.10:                               ;   in Loop: Header=BB152_9 Depth=1
	v_dual_mov_b32 v15, v13 :: v_dual_mov_b32 v14, v12
	v_dual_mov_b32 v17, v10 :: v_dual_mov_b32 v16, v9
	s_mov_b32 s34, 0
	s_branch .LBB152_13
.LBB152_11:                             ;   in Loop: Header=BB152_13 Depth=2
	s_set_inst_prefetch_distance 0x2
	s_or_b32 exec_lo, exec_lo, s36
.LBB152_12:                             ;   in Loop: Header=BB152_13 Depth=2
	s_delay_alu instid0(SALU_CYCLE_1) | instskip(SKIP_1) | instid1(VALU_DEP_1)
	s_or_b32 exec_lo, exec_lo, s35
	v_add_co_u32 v16, s2, v16, s8
	v_add_co_ci_u32_e64 v17, s2, s9, v17, s2
	v_add_co_u32 v14, s3, v14, s28
	s_delay_alu instid0(VALU_DEP_1) | instskip(NEXT) | instid1(VALU_DEP_3)
	v_add_co_ci_u32_e64 v15, s3, s29, v15, s3
	v_cmp_le_i64_e64 s2, s[20:21], v[16:17]
	s_delay_alu instid0(VALU_DEP_1) | instskip(NEXT) | instid1(SALU_CYCLE_1)
	s_or_b32 s34, s2, s34
	s_and_not1_b32 exec_lo, exec_lo, s34
	s_cbranch_execz .LBB152_7
.LBB152_13:                             ;   Parent Loop BB152_9 Depth=1
                                        ; =>  This Loop Header: Depth=2
                                        ;       Child Loop BB152_16 Depth 3
                                        ;         Child Loop BB152_18 Depth 4
	s_and_saveexec_b32 s35, vcc_lo
	s_cbranch_execz .LBB152_12
; %bb.14:                               ;   in Loop: Header=BB152_13 Depth=2
	v_dual_mov_b32 v19, v15 :: v_dual_mov_b32 v18, v14
	v_dual_mov_b32 v21, v8 :: v_dual_mov_b32 v20, v7
	s_mov_b32 s36, 0
	s_set_inst_prefetch_distance 0x1
	s_branch .LBB152_16
	.p2align	6
.LBB152_15:                             ;   in Loop: Header=BB152_16 Depth=3
	s_or_b32 exec_lo, exec_lo, s37
	v_add_co_u32 v20, s2, v20, s6
	s_delay_alu instid0(VALU_DEP_1) | instskip(SKIP_1) | instid1(VALU_DEP_1)
	v_add_co_ci_u32_e64 v21, s2, s7, v21, s2
	v_add_co_u32 v18, s3, v18, s24
	v_add_co_ci_u32_e64 v19, s3, s25, v19, s3
	s_delay_alu instid0(VALU_DEP_3) | instskip(NEXT) | instid1(VALU_DEP_1)
	v_cmp_le_i64_e64 s2, s[18:19], v[20:21]
	s_or_b32 s36, s2, s36
	s_delay_alu instid0(SALU_CYCLE_1)
	s_and_not1_b32 exec_lo, exec_lo, s36
	s_cbranch_execz .LBB152_11
.LBB152_16:                             ;   Parent Loop BB152_9 Depth=1
                                        ;     Parent Loop BB152_13 Depth=2
                                        ; =>    This Loop Header: Depth=3
                                        ;         Child Loop BB152_18 Depth 4
	s_and_saveexec_b32 s37, s0
	s_cbranch_execz .LBB152_15
; %bb.17:                               ;   in Loop: Header=BB152_16 Depth=3
	v_dual_mov_b32 v23, v19 :: v_dual_mov_b32 v22, v18
	v_dual_mov_b32 v25, v6 :: v_dual_mov_b32 v24, v5
	s_mov_b32 s38, 0
.LBB152_18:                             ;   Parent Loop BB152_9 Depth=1
                                        ;     Parent Loop BB152_13 Depth=2
                                        ;       Parent Loop BB152_16 Depth=3
                                        ; =>      This Inner Loop Header: Depth=4
	global_load_b32 v0, v[22:23], off
	v_add_co_u32 v24, s2, v24, s4
	s_delay_alu instid0(VALU_DEP_1) | instskip(SKIP_1) | instid1(VALU_DEP_1)
	v_add_co_ci_u32_e64 v25, s2, s5, v25, s2
	v_add_co_u32 v22, s3, v22, s26
	v_add_co_ci_u32_e64 v23, s3, s27, v23, s3
	s_delay_alu instid0(VALU_DEP_3) | instskip(NEXT) | instid1(VALU_DEP_1)
	v_cmp_le_i64_e64 s2, s[16:17], v[24:25]
	s_or_b32 s38, s2, s38
	s_waitcnt vmcnt(0)
	v_add_f32_e32 v11, v11, v0
	s_and_not1_b32 exec_lo, exec_lo, s38
	s_cbranch_execnz .LBB152_18
; %bb.19:                               ;   in Loop: Header=BB152_16 Depth=3
	s_or_b32 exec_lo, exec_lo, s38
	s_branch .LBB152_15
.LBB152_20:
	s_or_b32 exec_lo, exec_lo, s30
.LBB152_21:
	s_delay_alu instid0(SALU_CYCLE_1) | instskip(NEXT) | instid1(VALU_DEP_2)
	s_or_b32 exec_lo, exec_lo, s33
	v_mad_u64_u32 v[3:4], null, v1, s6, v[7:8]
	v_mul_lo_u32 v0, v1, s7
	v_mul_lo_u32 v1, v2, s6
	s_delay_alu instid0(VALU_DEP_1) | instskip(NEXT) | instid1(VALU_DEP_4)
	v_add3_u32 v2, v1, v4, v0
	v_mul_lo_u32 v4, v3, s5
	v_mad_u64_u32 v[0:1], null, v3, s4, 0
	s_delay_alu instid0(VALU_DEP_3) | instskip(NEXT) | instid1(VALU_DEP_1)
	v_mul_lo_u32 v2, v2, s4
	v_add3_u32 v1, v1, v4, v2
	v_lshlrev_b64 v[2:3], 2, v[5:6]
	s_delay_alu instid0(VALU_DEP_2) | instskip(NEXT) | instid1(VALU_DEP_1)
	v_lshlrev_b64 v[0:1], 2, v[0:1]
	v_add_co_u32 v0, vcc_lo, s12, v0
	s_delay_alu instid0(VALU_DEP_2) | instskip(NEXT) | instid1(VALU_DEP_2)
	v_add_co_ci_u32_e32 v1, vcc_lo, s13, v1, vcc_lo
	v_add_co_u32 v0, vcc_lo, v0, v2
	s_delay_alu instid0(VALU_DEP_2)
	v_add_co_ci_u32_e32 v1, vcc_lo, v1, v3, vcc_lo
	global_store_b32 v[0:1], v11, off
.LBB152_22:
	s_nop 0
	s_sendmsg sendmsg(MSG_DEALLOC_VGPRS)
	s_endpgm
	.section	.rodata,"a",@progbits
	.p2align	6, 0x0
	.amdhsa_kernel _ZL13k_repeat_backIfEvPKT_PS0_llllmmmmllll
		.amdhsa_group_segment_fixed_size 0
		.amdhsa_private_segment_fixed_size 0
		.amdhsa_kernarg_size 368
		.amdhsa_user_sgpr_count 13
		.amdhsa_user_sgpr_dispatch_ptr 0
		.amdhsa_user_sgpr_queue_ptr 0
		.amdhsa_user_sgpr_kernarg_segment_ptr 1
		.amdhsa_user_sgpr_dispatch_id 0
		.amdhsa_user_sgpr_private_segment_size 0
		.amdhsa_wavefront_size32 1
		.amdhsa_uses_dynamic_stack 0
		.amdhsa_enable_private_segment 0
		.amdhsa_system_sgpr_workgroup_id_x 1
		.amdhsa_system_sgpr_workgroup_id_y 1
		.amdhsa_system_sgpr_workgroup_id_z 1
		.amdhsa_system_sgpr_workgroup_info 0
		.amdhsa_system_vgpr_workitem_id 2
		.amdhsa_next_free_vgpr 26
		.amdhsa_next_free_sgpr 39
		.amdhsa_reserve_vcc 1
		.amdhsa_float_round_mode_32 0
		.amdhsa_float_round_mode_16_64 0
		.amdhsa_float_denorm_mode_32 3
		.amdhsa_float_denorm_mode_16_64 3
		.amdhsa_dx10_clamp 1
		.amdhsa_ieee_mode 1
		.amdhsa_fp16_overflow 0
		.amdhsa_workgroup_processor_mode 1
		.amdhsa_memory_ordered 1
		.amdhsa_forward_progress 0
		.amdhsa_shared_vgpr_count 0
		.amdhsa_exception_fp_ieee_invalid_op 0
		.amdhsa_exception_fp_denorm_src 0
		.amdhsa_exception_fp_ieee_div_zero 0
		.amdhsa_exception_fp_ieee_overflow 0
		.amdhsa_exception_fp_ieee_underflow 0
		.amdhsa_exception_fp_ieee_inexact 0
		.amdhsa_exception_int_div_zero 0
	.end_amdhsa_kernel
	.section	.text._ZL13k_repeat_backIfEvPKT_PS0_llllmmmmllll,"axG",@progbits,_ZL13k_repeat_backIfEvPKT_PS0_llllmmmmllll,comdat
.Lfunc_end152:
	.size	_ZL13k_repeat_backIfEvPKT_PS0_llllmmmmllll, .Lfunc_end152-_ZL13k_repeat_backIfEvPKT_PS0_llllmmmmllll
                                        ; -- End function
	.section	.AMDGPU.csdata,"",@progbits
; Kernel info:
; codeLenInByte = 2172
; NumSgprs: 41
; NumVgprs: 26
; ScratchSize: 0
; MemoryBound: 0
; FloatMode: 240
; IeeeMode: 1
; LDSByteSize: 0 bytes/workgroup (compile time only)
; SGPRBlocks: 5
; VGPRBlocks: 3
; NumSGPRsForWavesPerEU: 41
; NumVGPRsForWavesPerEU: 26
; Occupancy: 16
; WaveLimiterHint : 0
; COMPUTE_PGM_RSRC2:SCRATCH_EN: 0
; COMPUTE_PGM_RSRC2:USER_SGPR: 13
; COMPUTE_PGM_RSRC2:TRAP_HANDLER: 0
; COMPUTE_PGM_RSRC2:TGID_X_EN: 1
; COMPUTE_PGM_RSRC2:TGID_Y_EN: 1
; COMPUTE_PGM_RSRC2:TGID_Z_EN: 1
; COMPUTE_PGM_RSRC2:TIDIG_COMP_CNT: 2
	.text
	.p2alignl 7, 3214868480
	.fill 96, 4, 3214868480
	.type	__hip_cuid_1b68539a362e9190,@object ; @__hip_cuid_1b68539a362e9190
	.section	.bss,"aw",@nobits
	.globl	__hip_cuid_1b68539a362e9190
__hip_cuid_1b68539a362e9190:
	.byte	0                               ; 0x0
	.size	__hip_cuid_1b68539a362e9190, 1

	.ident	"AMD clang version 19.0.0git (https://github.com/RadeonOpenCompute/llvm-project roc-6.4.0 25133 c7fe45cf4b819c5991fe208aaa96edf142730f1d)"
	.section	".note.GNU-stack","",@progbits
	.addrsig
	.addrsig_sym __hip_cuid_1b68539a362e9190
	.amdgpu_metadata
---
amdhsa.kernels:
  - .args:
      - .address_space:  global
        .offset:         0
        .size:           8
        .value_kind:     global_buffer
      - .address_space:  global
        .offset:         8
        .size:           8
        .value_kind:     global_buffer
      - .address_space:  global
        .offset:         16
        .size:           8
        .value_kind:     global_buffer
      - .offset:         24
        .size:           12
        .value_kind:     by_value
      - .offset:         36
        .size:           12
        .value_kind:     by_value
      - .offset:         48
        .size:           12
        .value_kind:     by_value
      - .offset:         60
        .size:           4
        .value_kind:     by_value
      - .offset:         64
        .size:           12
        .value_kind:     by_value
      - .offset:         76
        .size:           12
        .value_kind:     by_value
      - .offset:         88
        .size:           12
        .value_kind:     by_value
      - .offset:         100
        .size:           12
        .value_kind:     by_value
      - .offset:         112
        .size:           12
        .value_kind:     by_value
      - .offset:         124
        .size:           12
        .value_kind:     by_value
      - .offset:         136
        .size:           4
        .value_kind:     by_value
      - .offset:         140
        .size:           4
        .value_kind:     by_value
      - .offset:         144
        .size:           4
        .value_kind:     by_value
      - .offset:         148
        .size:           4
        .value_kind:     by_value
      - .offset:         152
        .size:           4
        .value_kind:     by_value
      - .offset:         156
        .size:           4
        .value_kind:     by_value
      - .offset:         160
        .size:           4
        .value_kind:     by_value
      - .offset:         164
        .size:           4
        .value_kind:     by_value
      - .offset:         168
        .size:           4
        .value_kind:     by_value
      - .offset:         172
        .size:           4
        .value_kind:     by_value
      - .offset:         176
        .size:           4
        .value_kind:     by_value
      - .offset:         184
        .size:           4
        .value_kind:     hidden_block_count_x
      - .offset:         188
        .size:           4
        .value_kind:     hidden_block_count_y
      - .offset:         192
        .size:           4
        .value_kind:     hidden_block_count_z
      - .offset:         196
        .size:           2
        .value_kind:     hidden_group_size_x
      - .offset:         198
        .size:           2
        .value_kind:     hidden_group_size_y
      - .offset:         200
        .size:           2
        .value_kind:     hidden_group_size_z
      - .offset:         202
        .size:           2
        .value_kind:     hidden_remainder_x
      - .offset:         204
        .size:           2
        .value_kind:     hidden_remainder_y
      - .offset:         206
        .size:           2
        .value_kind:     hidden_remainder_z
      - .offset:         224
        .size:           8
        .value_kind:     hidden_global_offset_x
      - .offset:         232
        .size:           8
        .value_kind:     hidden_global_offset_y
      - .offset:         240
        .size:           8
        .value_kind:     hidden_global_offset_z
      - .offset:         248
        .size:           2
        .value_kind:     hidden_grid_dims
    .group_segment_fixed_size: 0
    .kernarg_segment_align: 8
    .kernarg_segment_size: 440
    .language:       OpenCL C
    .language_version:
      - 2
      - 0
    .max_flat_workgroup_size: 1024
    .name:           _ZL19k_bin_bcast_unravelIXadL_ZL9op_repeatffEEfffJEEvPKT0_PKT1_PT2_15HIP_vector_typeIjLj3EES9_S9_jS9_S9_S9_S9_S9_S9_iiiiiiiiiiiDpT3_
    .private_segment_fixed_size: 0
    .sgpr_count:     26
    .sgpr_spill_count: 0
    .symbol:         _ZL19k_bin_bcast_unravelIXadL_ZL9op_repeatffEEfffJEEvPKT0_PKT1_PT2_15HIP_vector_typeIjLj3EES9_S9_jS9_S9_S9_S9_S9_S9_iiiiiiiiiiiDpT3_.kd
    .uniform_work_group_size: 1
    .uses_dynamic_stack: false
    .vgpr_count:     8
    .vgpr_spill_count: 0
    .wavefront_size: 32
    .workgroup_processor_mode: 1
  - .args:
      - .address_space:  global
        .offset:         0
        .size:           8
        .value_kind:     global_buffer
      - .address_space:  global
        .offset:         8
        .size:           8
        .value_kind:     global_buffer
      - .address_space:  global
        .offset:         16
        .size:           8
        .value_kind:     global_buffer
      - .offset:         24
        .size:           4
        .value_kind:     by_value
      - .offset:         28
        .size:           4
        .value_kind:     by_value
      - .offset:         32
        .size:           4
        .value_kind:     by_value
      - .offset:         36
        .size:           12
        .value_kind:     by_value
      - .offset:         48
        .size:           12
        .value_kind:     by_value
      - .offset:         60
        .size:           12
        .value_kind:     by_value
      - .offset:         72
        .size:           12
        .value_kind:     by_value
      - .offset:         84
        .size:           12
        .value_kind:     by_value
      - .offset:         96
        .size:           4
        .value_kind:     by_value
      - .offset:         100
        .size:           4
        .value_kind:     by_value
      - .offset:         104
        .size:           4
        .value_kind:     by_value
      - .offset:         108
        .size:           4
        .value_kind:     by_value
      - .offset:         112
        .size:           4
        .value_kind:     by_value
      - .offset:         116
        .size:           4
        .value_kind:     by_value
      - .offset:         120
        .size:           4
        .value_kind:     by_value
      - .offset:         124
        .size:           4
        .value_kind:     by_value
      - .offset:         128
        .size:           4
        .value_kind:     by_value
      - .offset:         132
        .size:           4
        .value_kind:     by_value
      - .offset:         136
        .size:           4
        .value_kind:     by_value
      - .offset:         144
        .size:           4
        .value_kind:     hidden_block_count_x
      - .offset:         148
        .size:           4
        .value_kind:     hidden_block_count_y
      - .offset:         152
        .size:           4
        .value_kind:     hidden_block_count_z
      - .offset:         156
        .size:           2
        .value_kind:     hidden_group_size_x
      - .offset:         158
        .size:           2
        .value_kind:     hidden_group_size_y
      - .offset:         160
        .size:           2
        .value_kind:     hidden_group_size_z
      - .offset:         162
        .size:           2
        .value_kind:     hidden_remainder_x
      - .offset:         164
        .size:           2
        .value_kind:     hidden_remainder_y
      - .offset:         166
        .size:           2
        .value_kind:     hidden_remainder_z
      - .offset:         184
        .size:           8
        .value_kind:     hidden_global_offset_x
      - .offset:         192
        .size:           8
        .value_kind:     hidden_global_offset_y
      - .offset:         200
        .size:           8
        .value_kind:     hidden_global_offset_z
      - .offset:         208
        .size:           2
        .value_kind:     hidden_grid_dims
    .group_segment_fixed_size: 0
    .kernarg_segment_align: 8
    .kernarg_segment_size: 400
    .language:       OpenCL C
    .language_version:
      - 2
      - 0
    .max_flat_workgroup_size: 1024
    .name:           _ZL11k_bin_bcastIXadL_ZL9op_repeatffEEfffJEEvPKT0_PKT1_PT2_iii15HIP_vector_typeIjLj3EES9_S9_S9_S9_iiiiiiiiiiiDpT3_
    .private_segment_fixed_size: 0
    .sgpr_count:     34
    .sgpr_spill_count: 0
    .symbol:         _ZL11k_bin_bcastIXadL_ZL9op_repeatffEEfffJEEvPKT0_PKT1_PT2_iii15HIP_vector_typeIjLj3EES9_S9_S9_S9_iiiiiiiiiiiDpT3_.kd
    .uniform_work_group_size: 1
    .uses_dynamic_stack: false
    .vgpr_count:     11
    .vgpr_spill_count: 0
    .wavefront_size: 32
    .workgroup_processor_mode: 1
  - .args:
      - .address_space:  global
        .offset:         0
        .size:           8
        .value_kind:     global_buffer
      - .address_space:  global
        .offset:         8
        .size:           8
        .value_kind:     global_buffer
      - .address_space:  global
        .offset:         16
        .size:           8
        .value_kind:     global_buffer
      - .offset:         24
        .size:           12
        .value_kind:     by_value
      - .offset:         36
        .size:           12
        .value_kind:     by_value
      - .offset:         48
        .size:           12
        .value_kind:     by_value
      - .offset:         60
        .size:           4
        .value_kind:     by_value
      - .offset:         64
        .size:           12
        .value_kind:     by_value
      - .offset:         76
        .size:           12
        .value_kind:     by_value
      - .offset:         88
        .size:           12
        .value_kind:     by_value
      - .offset:         100
        .size:           12
        .value_kind:     by_value
      - .offset:         112
        .size:           12
        .value_kind:     by_value
      - .offset:         124
        .size:           12
        .value_kind:     by_value
      - .offset:         136
        .size:           4
        .value_kind:     by_value
      - .offset:         140
        .size:           4
        .value_kind:     by_value
      - .offset:         144
        .size:           4
        .value_kind:     by_value
      - .offset:         148
        .size:           4
        .value_kind:     by_value
      - .offset:         152
        .size:           4
        .value_kind:     by_value
      - .offset:         156
        .size:           4
        .value_kind:     by_value
      - .offset:         160
        .size:           4
        .value_kind:     by_value
      - .offset:         164
        .size:           4
        .value_kind:     by_value
      - .offset:         168
        .size:           4
        .value_kind:     by_value
      - .offset:         172
        .size:           4
        .value_kind:     by_value
      - .offset:         176
        .size:           4
        .value_kind:     by_value
      - .offset:         184
        .size:           4
        .value_kind:     hidden_block_count_x
      - .offset:         188
        .size:           4
        .value_kind:     hidden_block_count_y
      - .offset:         192
        .size:           4
        .value_kind:     hidden_block_count_z
      - .offset:         196
        .size:           2
        .value_kind:     hidden_group_size_x
      - .offset:         198
        .size:           2
        .value_kind:     hidden_group_size_y
      - .offset:         200
        .size:           2
        .value_kind:     hidden_group_size_z
      - .offset:         202
        .size:           2
        .value_kind:     hidden_remainder_x
      - .offset:         204
        .size:           2
        .value_kind:     hidden_remainder_y
      - .offset:         206
        .size:           2
        .value_kind:     hidden_remainder_z
      - .offset:         224
        .size:           8
        .value_kind:     hidden_global_offset_x
      - .offset:         232
        .size:           8
        .value_kind:     hidden_global_offset_y
      - .offset:         240
        .size:           8
        .value_kind:     hidden_global_offset_z
      - .offset:         248
        .size:           2
        .value_kind:     hidden_grid_dims
    .group_segment_fixed_size: 0
    .kernarg_segment_align: 8
    .kernarg_segment_size: 440
    .language:       OpenCL C
    .language_version:
      - 2
      - 0
    .max_flat_workgroup_size: 1024
    .name:           _ZL19k_bin_bcast_unravelIXadL_ZL9op_repeatffEE6__halfS0_S0_JEEvPKT0_PKT1_PT2_15HIP_vector_typeIjLj3EESA_SA_jSA_SA_SA_SA_SA_SA_iiiiiiiiiiiDpT3_
    .private_segment_fixed_size: 0
    .sgpr_count:     26
    .sgpr_spill_count: 0
    .symbol:         _ZL19k_bin_bcast_unravelIXadL_ZL9op_repeatffEE6__halfS0_S0_JEEvPKT0_PKT1_PT2_15HIP_vector_typeIjLj3EESA_SA_jSA_SA_SA_SA_SA_SA_iiiiiiiiiiiDpT3_.kd
    .uniform_work_group_size: 1
    .uses_dynamic_stack: false
    .vgpr_count:     8
    .vgpr_spill_count: 0
    .wavefront_size: 32
    .workgroup_processor_mode: 1
  - .args:
      - .address_space:  global
        .offset:         0
        .size:           8
        .value_kind:     global_buffer
      - .address_space:  global
        .offset:         8
        .size:           8
        .value_kind:     global_buffer
      - .address_space:  global
        .offset:         16
        .size:           8
        .value_kind:     global_buffer
      - .offset:         24
        .size:           4
        .value_kind:     by_value
      - .offset:         28
        .size:           4
        .value_kind:     by_value
      - .offset:         32
        .size:           4
        .value_kind:     by_value
      - .offset:         36
        .size:           12
        .value_kind:     by_value
      - .offset:         48
        .size:           12
        .value_kind:     by_value
      - .offset:         60
        .size:           12
        .value_kind:     by_value
      - .offset:         72
        .size:           12
        .value_kind:     by_value
      - .offset:         84
        .size:           12
        .value_kind:     by_value
      - .offset:         96
        .size:           4
        .value_kind:     by_value
      - .offset:         100
        .size:           4
        .value_kind:     by_value
      - .offset:         104
        .size:           4
        .value_kind:     by_value
      - .offset:         108
        .size:           4
        .value_kind:     by_value
      - .offset:         112
        .size:           4
        .value_kind:     by_value
      - .offset:         116
        .size:           4
        .value_kind:     by_value
      - .offset:         120
        .size:           4
        .value_kind:     by_value
      - .offset:         124
        .size:           4
        .value_kind:     by_value
      - .offset:         128
        .size:           4
        .value_kind:     by_value
      - .offset:         132
        .size:           4
        .value_kind:     by_value
      - .offset:         136
        .size:           4
        .value_kind:     by_value
      - .offset:         144
        .size:           4
        .value_kind:     hidden_block_count_x
      - .offset:         148
        .size:           4
        .value_kind:     hidden_block_count_y
      - .offset:         152
        .size:           4
        .value_kind:     hidden_block_count_z
      - .offset:         156
        .size:           2
        .value_kind:     hidden_group_size_x
      - .offset:         158
        .size:           2
        .value_kind:     hidden_group_size_y
      - .offset:         160
        .size:           2
        .value_kind:     hidden_group_size_z
      - .offset:         162
        .size:           2
        .value_kind:     hidden_remainder_x
      - .offset:         164
        .size:           2
        .value_kind:     hidden_remainder_y
      - .offset:         166
        .size:           2
        .value_kind:     hidden_remainder_z
      - .offset:         184
        .size:           8
        .value_kind:     hidden_global_offset_x
      - .offset:         192
        .size:           8
        .value_kind:     hidden_global_offset_y
      - .offset:         200
        .size:           8
        .value_kind:     hidden_global_offset_z
      - .offset:         208
        .size:           2
        .value_kind:     hidden_grid_dims
    .group_segment_fixed_size: 0
    .kernarg_segment_align: 8
    .kernarg_segment_size: 400
    .language:       OpenCL C
    .language_version:
      - 2
      - 0
    .max_flat_workgroup_size: 1024
    .name:           _ZL11k_bin_bcastIXadL_ZL9op_repeatffEE6__halfS0_S0_JEEvPKT0_PKT1_PT2_iii15HIP_vector_typeIjLj3EESA_SA_SA_SA_iiiiiiiiiiiDpT3_
    .private_segment_fixed_size: 0
    .sgpr_count:     34
    .sgpr_spill_count: 0
    .symbol:         _ZL11k_bin_bcastIXadL_ZL9op_repeatffEE6__halfS0_S0_JEEvPKT0_PKT1_PT2_iii15HIP_vector_typeIjLj3EESA_SA_SA_SA_iiiiiiiiiiiDpT3_.kd
    .uniform_work_group_size: 1
    .uses_dynamic_stack: false
    .vgpr_count:     11
    .vgpr_spill_count: 0
    .wavefront_size: 32
    .workgroup_processor_mode: 1
  - .args:
      - .address_space:  global
        .offset:         0
        .size:           8
        .value_kind:     global_buffer
      - .address_space:  global
        .offset:         8
        .size:           8
        .value_kind:     global_buffer
      - .address_space:  global
        .offset:         16
        .size:           8
        .value_kind:     global_buffer
      - .offset:         24
        .size:           12
        .value_kind:     by_value
      - .offset:         36
        .size:           12
        .value_kind:     by_value
      - .offset:         48
        .size:           12
        .value_kind:     by_value
      - .offset:         60
        .size:           4
        .value_kind:     by_value
      - .offset:         64
        .size:           12
        .value_kind:     by_value
      - .offset:         76
        .size:           12
        .value_kind:     by_value
      - .offset:         88
        .size:           12
        .value_kind:     by_value
      - .offset:         100
        .size:           12
        .value_kind:     by_value
      - .offset:         112
        .size:           12
        .value_kind:     by_value
      - .offset:         124
        .size:           12
        .value_kind:     by_value
      - .offset:         136
        .size:           4
        .value_kind:     by_value
      - .offset:         140
        .size:           4
        .value_kind:     by_value
      - .offset:         144
        .size:           4
        .value_kind:     by_value
      - .offset:         148
        .size:           4
        .value_kind:     by_value
      - .offset:         152
        .size:           4
        .value_kind:     by_value
      - .offset:         156
        .size:           4
        .value_kind:     by_value
      - .offset:         160
        .size:           4
        .value_kind:     by_value
      - .offset:         164
        .size:           4
        .value_kind:     by_value
      - .offset:         168
        .size:           4
        .value_kind:     by_value
      - .offset:         172
        .size:           4
        .value_kind:     by_value
      - .offset:         176
        .size:           4
        .value_kind:     by_value
      - .offset:         184
        .size:           4
        .value_kind:     hidden_block_count_x
      - .offset:         188
        .size:           4
        .value_kind:     hidden_block_count_y
      - .offset:         192
        .size:           4
        .value_kind:     hidden_block_count_z
      - .offset:         196
        .size:           2
        .value_kind:     hidden_group_size_x
      - .offset:         198
        .size:           2
        .value_kind:     hidden_group_size_y
      - .offset:         200
        .size:           2
        .value_kind:     hidden_group_size_z
      - .offset:         202
        .size:           2
        .value_kind:     hidden_remainder_x
      - .offset:         204
        .size:           2
        .value_kind:     hidden_remainder_y
      - .offset:         206
        .size:           2
        .value_kind:     hidden_remainder_z
      - .offset:         224
        .size:           8
        .value_kind:     hidden_global_offset_x
      - .offset:         232
        .size:           8
        .value_kind:     hidden_global_offset_y
      - .offset:         240
        .size:           8
        .value_kind:     hidden_global_offset_z
      - .offset:         248
        .size:           2
        .value_kind:     hidden_grid_dims
    .group_segment_fixed_size: 0
    .kernarg_segment_align: 8
    .kernarg_segment_size: 440
    .language:       OpenCL C
    .language_version:
      - 2
      - 0
    .max_flat_workgroup_size: 1024
    .name:           _ZL19k_bin_bcast_unravelIXadL_ZL9op_repeatffEE6__halffS0_JEEvPKT0_PKT1_PT2_15HIP_vector_typeIjLj3EESA_SA_jSA_SA_SA_SA_SA_SA_iiiiiiiiiiiDpT3_
    .private_segment_fixed_size: 0
    .sgpr_count:     26
    .sgpr_spill_count: 0
    .symbol:         _ZL19k_bin_bcast_unravelIXadL_ZL9op_repeatffEE6__halffS0_JEEvPKT0_PKT1_PT2_15HIP_vector_typeIjLj3EESA_SA_jSA_SA_SA_SA_SA_SA_iiiiiiiiiiiDpT3_.kd
    .uniform_work_group_size: 1
    .uses_dynamic_stack: false
    .vgpr_count:     8
    .vgpr_spill_count: 0
    .wavefront_size: 32
    .workgroup_processor_mode: 1
  - .args:
      - .address_space:  global
        .offset:         0
        .size:           8
        .value_kind:     global_buffer
      - .address_space:  global
        .offset:         8
        .size:           8
        .value_kind:     global_buffer
      - .address_space:  global
        .offset:         16
        .size:           8
        .value_kind:     global_buffer
      - .offset:         24
        .size:           4
        .value_kind:     by_value
      - .offset:         28
        .size:           4
        .value_kind:     by_value
      - .offset:         32
        .size:           4
        .value_kind:     by_value
      - .offset:         36
        .size:           12
        .value_kind:     by_value
      - .offset:         48
        .size:           12
        .value_kind:     by_value
      - .offset:         60
        .size:           12
        .value_kind:     by_value
      - .offset:         72
        .size:           12
        .value_kind:     by_value
      - .offset:         84
        .size:           12
        .value_kind:     by_value
      - .offset:         96
        .size:           4
        .value_kind:     by_value
      - .offset:         100
        .size:           4
        .value_kind:     by_value
      - .offset:         104
        .size:           4
        .value_kind:     by_value
      - .offset:         108
        .size:           4
        .value_kind:     by_value
      - .offset:         112
        .size:           4
        .value_kind:     by_value
      - .offset:         116
        .size:           4
        .value_kind:     by_value
      - .offset:         120
        .size:           4
        .value_kind:     by_value
      - .offset:         124
        .size:           4
        .value_kind:     by_value
      - .offset:         128
        .size:           4
        .value_kind:     by_value
      - .offset:         132
        .size:           4
        .value_kind:     by_value
      - .offset:         136
        .size:           4
        .value_kind:     by_value
      - .offset:         144
        .size:           4
        .value_kind:     hidden_block_count_x
      - .offset:         148
        .size:           4
        .value_kind:     hidden_block_count_y
      - .offset:         152
        .size:           4
        .value_kind:     hidden_block_count_z
      - .offset:         156
        .size:           2
        .value_kind:     hidden_group_size_x
      - .offset:         158
        .size:           2
        .value_kind:     hidden_group_size_y
      - .offset:         160
        .size:           2
        .value_kind:     hidden_group_size_z
      - .offset:         162
        .size:           2
        .value_kind:     hidden_remainder_x
      - .offset:         164
        .size:           2
        .value_kind:     hidden_remainder_y
      - .offset:         166
        .size:           2
        .value_kind:     hidden_remainder_z
      - .offset:         184
        .size:           8
        .value_kind:     hidden_global_offset_x
      - .offset:         192
        .size:           8
        .value_kind:     hidden_global_offset_y
      - .offset:         200
        .size:           8
        .value_kind:     hidden_global_offset_z
      - .offset:         208
        .size:           2
        .value_kind:     hidden_grid_dims
    .group_segment_fixed_size: 0
    .kernarg_segment_align: 8
    .kernarg_segment_size: 400
    .language:       OpenCL C
    .language_version:
      - 2
      - 0
    .max_flat_workgroup_size: 1024
    .name:           _ZL11k_bin_bcastIXadL_ZL9op_repeatffEE6__halffS0_JEEvPKT0_PKT1_PT2_iii15HIP_vector_typeIjLj3EESA_SA_SA_SA_iiiiiiiiiiiDpT3_
    .private_segment_fixed_size: 0
    .sgpr_count:     34
    .sgpr_spill_count: 0
    .symbol:         _ZL11k_bin_bcastIXadL_ZL9op_repeatffEE6__halffS0_JEEvPKT0_PKT1_PT2_iii15HIP_vector_typeIjLj3EESA_SA_SA_SA_iiiiiiiiiiiDpT3_.kd
    .uniform_work_group_size: 1
    .uses_dynamic_stack: false
    .vgpr_count:     11
    .vgpr_spill_count: 0
    .wavefront_size: 32
    .workgroup_processor_mode: 1
  - .args:
      - .address_space:  global
        .offset:         0
        .size:           8
        .value_kind:     global_buffer
      - .address_space:  global
        .offset:         8
        .size:           8
        .value_kind:     global_buffer
      - .address_space:  global
        .offset:         16
        .size:           8
        .value_kind:     global_buffer
      - .offset:         24
        .size:           12
        .value_kind:     by_value
      - .offset:         36
        .size:           12
        .value_kind:     by_value
      - .offset:         48
        .size:           12
        .value_kind:     by_value
      - .offset:         60
        .size:           4
        .value_kind:     by_value
      - .offset:         64
        .size:           12
        .value_kind:     by_value
      - .offset:         76
        .size:           12
        .value_kind:     by_value
      - .offset:         88
        .size:           12
        .value_kind:     by_value
      - .offset:         100
        .size:           12
        .value_kind:     by_value
      - .offset:         112
        .size:           12
        .value_kind:     by_value
      - .offset:         124
        .size:           12
        .value_kind:     by_value
      - .offset:         136
        .size:           4
        .value_kind:     by_value
      - .offset:         140
        .size:           4
        .value_kind:     by_value
      - .offset:         144
        .size:           4
        .value_kind:     by_value
      - .offset:         148
        .size:           4
        .value_kind:     by_value
      - .offset:         152
        .size:           4
        .value_kind:     by_value
      - .offset:         156
        .size:           4
        .value_kind:     by_value
      - .offset:         160
        .size:           4
        .value_kind:     by_value
      - .offset:         164
        .size:           4
        .value_kind:     by_value
      - .offset:         168
        .size:           4
        .value_kind:     by_value
      - .offset:         172
        .size:           4
        .value_kind:     by_value
      - .offset:         176
        .size:           4
        .value_kind:     by_value
      - .offset:         184
        .size:           4
        .value_kind:     hidden_block_count_x
      - .offset:         188
        .size:           4
        .value_kind:     hidden_block_count_y
      - .offset:         192
        .size:           4
        .value_kind:     hidden_block_count_z
      - .offset:         196
        .size:           2
        .value_kind:     hidden_group_size_x
      - .offset:         198
        .size:           2
        .value_kind:     hidden_group_size_y
      - .offset:         200
        .size:           2
        .value_kind:     hidden_group_size_z
      - .offset:         202
        .size:           2
        .value_kind:     hidden_remainder_x
      - .offset:         204
        .size:           2
        .value_kind:     hidden_remainder_y
      - .offset:         206
        .size:           2
        .value_kind:     hidden_remainder_z
      - .offset:         224
        .size:           8
        .value_kind:     hidden_global_offset_x
      - .offset:         232
        .size:           8
        .value_kind:     hidden_global_offset_y
      - .offset:         240
        .size:           8
        .value_kind:     hidden_global_offset_z
      - .offset:         248
        .size:           2
        .value_kind:     hidden_grid_dims
    .group_segment_fixed_size: 0
    .kernarg_segment_align: 8
    .kernarg_segment_size: 440
    .language:       OpenCL C
    .language_version:
      - 2
      - 0
    .max_flat_workgroup_size: 1024
    .name:           _ZL19k_bin_bcast_unravelIXadL_ZL9op_repeatffEE6__halfffJEEvPKT0_PKT1_PT2_15HIP_vector_typeIjLj3EESA_SA_jSA_SA_SA_SA_SA_SA_iiiiiiiiiiiDpT3_
    .private_segment_fixed_size: 0
    .sgpr_count:     26
    .sgpr_spill_count: 0
    .symbol:         _ZL19k_bin_bcast_unravelIXadL_ZL9op_repeatffEE6__halfffJEEvPKT0_PKT1_PT2_15HIP_vector_typeIjLj3EESA_SA_jSA_SA_SA_SA_SA_SA_iiiiiiiiiiiDpT3_.kd
    .uniform_work_group_size: 1
    .uses_dynamic_stack: false
    .vgpr_count:     8
    .vgpr_spill_count: 0
    .wavefront_size: 32
    .workgroup_processor_mode: 1
  - .args:
      - .address_space:  global
        .offset:         0
        .size:           8
        .value_kind:     global_buffer
      - .address_space:  global
        .offset:         8
        .size:           8
        .value_kind:     global_buffer
      - .address_space:  global
        .offset:         16
        .size:           8
        .value_kind:     global_buffer
      - .offset:         24
        .size:           4
        .value_kind:     by_value
      - .offset:         28
        .size:           4
        .value_kind:     by_value
      - .offset:         32
        .size:           4
        .value_kind:     by_value
      - .offset:         36
        .size:           12
        .value_kind:     by_value
      - .offset:         48
        .size:           12
        .value_kind:     by_value
      - .offset:         60
        .size:           12
        .value_kind:     by_value
      - .offset:         72
        .size:           12
        .value_kind:     by_value
      - .offset:         84
        .size:           12
        .value_kind:     by_value
      - .offset:         96
        .size:           4
        .value_kind:     by_value
      - .offset:         100
        .size:           4
        .value_kind:     by_value
      - .offset:         104
        .size:           4
        .value_kind:     by_value
      - .offset:         108
        .size:           4
        .value_kind:     by_value
      - .offset:         112
        .size:           4
        .value_kind:     by_value
      - .offset:         116
        .size:           4
        .value_kind:     by_value
      - .offset:         120
        .size:           4
        .value_kind:     by_value
      - .offset:         124
        .size:           4
        .value_kind:     by_value
      - .offset:         128
        .size:           4
        .value_kind:     by_value
      - .offset:         132
        .size:           4
        .value_kind:     by_value
      - .offset:         136
        .size:           4
        .value_kind:     by_value
      - .offset:         144
        .size:           4
        .value_kind:     hidden_block_count_x
      - .offset:         148
        .size:           4
        .value_kind:     hidden_block_count_y
      - .offset:         152
        .size:           4
        .value_kind:     hidden_block_count_z
      - .offset:         156
        .size:           2
        .value_kind:     hidden_group_size_x
      - .offset:         158
        .size:           2
        .value_kind:     hidden_group_size_y
      - .offset:         160
        .size:           2
        .value_kind:     hidden_group_size_z
      - .offset:         162
        .size:           2
        .value_kind:     hidden_remainder_x
      - .offset:         164
        .size:           2
        .value_kind:     hidden_remainder_y
      - .offset:         166
        .size:           2
        .value_kind:     hidden_remainder_z
      - .offset:         184
        .size:           8
        .value_kind:     hidden_global_offset_x
      - .offset:         192
        .size:           8
        .value_kind:     hidden_global_offset_y
      - .offset:         200
        .size:           8
        .value_kind:     hidden_global_offset_z
      - .offset:         208
        .size:           2
        .value_kind:     hidden_grid_dims
    .group_segment_fixed_size: 0
    .kernarg_segment_align: 8
    .kernarg_segment_size: 400
    .language:       OpenCL C
    .language_version:
      - 2
      - 0
    .max_flat_workgroup_size: 1024
    .name:           _ZL11k_bin_bcastIXadL_ZL9op_repeatffEE6__halfffJEEvPKT0_PKT1_PT2_iii15HIP_vector_typeIjLj3EESA_SA_SA_SA_iiiiiiiiiiiDpT3_
    .private_segment_fixed_size: 0
    .sgpr_count:     34
    .sgpr_spill_count: 0
    .symbol:         _ZL11k_bin_bcastIXadL_ZL9op_repeatffEE6__halfffJEEvPKT0_PKT1_PT2_iii15HIP_vector_typeIjLj3EESA_SA_SA_SA_iiiiiiiiiiiDpT3_.kd
    .uniform_work_group_size: 1
    .uses_dynamic_stack: false
    .vgpr_count:     11
    .vgpr_spill_count: 0
    .wavefront_size: 32
    .workgroup_processor_mode: 1
  - .args:
      - .address_space:  global
        .offset:         0
        .size:           8
        .value_kind:     global_buffer
      - .address_space:  global
        .offset:         8
        .size:           8
        .value_kind:     global_buffer
      - .address_space:  global
        .offset:         16
        .size:           8
        .value_kind:     global_buffer
      - .offset:         24
        .size:           12
        .value_kind:     by_value
      - .offset:         36
        .size:           12
        .value_kind:     by_value
      - .offset:         48
        .size:           12
        .value_kind:     by_value
      - .offset:         60
        .size:           4
        .value_kind:     by_value
      - .offset:         64
        .size:           12
        .value_kind:     by_value
      - .offset:         76
        .size:           12
        .value_kind:     by_value
      - .offset:         88
        .size:           12
        .value_kind:     by_value
      - .offset:         100
        .size:           12
        .value_kind:     by_value
      - .offset:         112
        .size:           12
        .value_kind:     by_value
      - .offset:         124
        .size:           12
        .value_kind:     by_value
      - .offset:         136
        .size:           4
        .value_kind:     by_value
      - .offset:         140
        .size:           4
        .value_kind:     by_value
      - .offset:         144
        .size:           4
        .value_kind:     by_value
      - .offset:         148
        .size:           4
        .value_kind:     by_value
      - .offset:         152
        .size:           4
        .value_kind:     by_value
      - .offset:         156
        .size:           4
        .value_kind:     by_value
      - .offset:         160
        .size:           4
        .value_kind:     by_value
      - .offset:         164
        .size:           4
        .value_kind:     by_value
      - .offset:         168
        .size:           4
        .value_kind:     by_value
      - .offset:         172
        .size:           4
        .value_kind:     by_value
      - .offset:         176
        .size:           4
        .value_kind:     by_value
      - .address_space:  global
        .offset:         184
        .size:           8
        .value_kind:     global_buffer
      - .offset:         192
        .size:           4
        .value_kind:     hidden_block_count_x
      - .offset:         196
        .size:           4
        .value_kind:     hidden_block_count_y
      - .offset:         200
        .size:           4
        .value_kind:     hidden_block_count_z
      - .offset:         204
        .size:           2
        .value_kind:     hidden_group_size_x
      - .offset:         206
        .size:           2
        .value_kind:     hidden_group_size_y
      - .offset:         208
        .size:           2
        .value_kind:     hidden_group_size_z
      - .offset:         210
        .size:           2
        .value_kind:     hidden_remainder_x
      - .offset:         212
        .size:           2
        .value_kind:     hidden_remainder_y
      - .offset:         214
        .size:           2
        .value_kind:     hidden_remainder_z
      - .offset:         232
        .size:           8
        .value_kind:     hidden_global_offset_x
      - .offset:         240
        .size:           8
        .value_kind:     hidden_global_offset_y
      - .offset:         248
        .size:           8
        .value_kind:     hidden_global_offset_z
      - .offset:         256
        .size:           2
        .value_kind:     hidden_grid_dims
    .group_segment_fixed_size: 0
    .kernarg_segment_align: 8
    .kernarg_segment_size: 448
    .language:       OpenCL C
    .language_version:
      - 2
      - 0
    .max_flat_workgroup_size: 1024
    .name:           _ZL19k_bin_bcast_unravelIXadL_ZL6op_addffEEfffJPKfEEvPKT0_PKT1_PT2_15HIP_vector_typeIjLj3EESB_SB_jSB_SB_SB_SB_SB_SB_iiiiiiiiiiiDpT3_
    .private_segment_fixed_size: 0
    .sgpr_count:     30
    .sgpr_spill_count: 0
    .symbol:         _ZL19k_bin_bcast_unravelIXadL_ZL6op_addffEEfffJPKfEEvPKT0_PKT1_PT2_15HIP_vector_typeIjLj3EESB_SB_jSB_SB_SB_SB_SB_SB_iiiiiiiiiiiDpT3_.kd
    .uniform_work_group_size: 1
    .uses_dynamic_stack: false
    .vgpr_count:     9
    .vgpr_spill_count: 0
    .wavefront_size: 32
    .workgroup_processor_mode: 1
  - .args:
      - .address_space:  global
        .offset:         0
        .size:           8
        .value_kind:     global_buffer
      - .address_space:  global
        .offset:         8
        .size:           8
        .value_kind:     global_buffer
      - .address_space:  global
        .offset:         16
        .size:           8
        .value_kind:     global_buffer
      - .offset:         24
        .size:           4
        .value_kind:     by_value
      - .offset:         28
        .size:           4
        .value_kind:     by_value
      - .offset:         32
        .size:           4
        .value_kind:     by_value
      - .offset:         36
        .size:           12
        .value_kind:     by_value
      - .offset:         48
        .size:           12
        .value_kind:     by_value
      - .offset:         60
        .size:           12
        .value_kind:     by_value
      - .offset:         72
        .size:           12
        .value_kind:     by_value
      - .offset:         84
        .size:           12
        .value_kind:     by_value
      - .offset:         96
        .size:           4
        .value_kind:     by_value
      - .offset:         100
        .size:           4
        .value_kind:     by_value
      - .offset:         104
        .size:           4
        .value_kind:     by_value
      - .offset:         108
        .size:           4
        .value_kind:     by_value
      - .offset:         112
        .size:           4
        .value_kind:     by_value
      - .offset:         116
        .size:           4
        .value_kind:     by_value
      - .offset:         120
        .size:           4
        .value_kind:     by_value
      - .offset:         124
        .size:           4
        .value_kind:     by_value
      - .offset:         128
        .size:           4
        .value_kind:     by_value
      - .offset:         132
        .size:           4
        .value_kind:     by_value
      - .offset:         136
        .size:           4
        .value_kind:     by_value
      - .address_space:  global
        .offset:         144
        .size:           8
        .value_kind:     global_buffer
      - .offset:         152
        .size:           4
        .value_kind:     hidden_block_count_x
      - .offset:         156
        .size:           4
        .value_kind:     hidden_block_count_y
      - .offset:         160
        .size:           4
        .value_kind:     hidden_block_count_z
      - .offset:         164
        .size:           2
        .value_kind:     hidden_group_size_x
      - .offset:         166
        .size:           2
        .value_kind:     hidden_group_size_y
      - .offset:         168
        .size:           2
        .value_kind:     hidden_group_size_z
      - .offset:         170
        .size:           2
        .value_kind:     hidden_remainder_x
      - .offset:         172
        .size:           2
        .value_kind:     hidden_remainder_y
      - .offset:         174
        .size:           2
        .value_kind:     hidden_remainder_z
      - .offset:         192
        .size:           8
        .value_kind:     hidden_global_offset_x
      - .offset:         200
        .size:           8
        .value_kind:     hidden_global_offset_y
      - .offset:         208
        .size:           8
        .value_kind:     hidden_global_offset_z
      - .offset:         216
        .size:           2
        .value_kind:     hidden_grid_dims
    .group_segment_fixed_size: 0
    .kernarg_segment_align: 8
    .kernarg_segment_size: 408
    .language:       OpenCL C
    .language_version:
      - 2
      - 0
    .max_flat_workgroup_size: 1024
    .name:           _ZL11k_bin_bcastIXadL_ZL6op_addffEEfffJPKfEEvPKT0_PKT1_PT2_iii15HIP_vector_typeIjLj3EESB_SB_SB_SB_iiiiiiiiiiiDpT3_
    .private_segment_fixed_size: 0
    .sgpr_count:     46
    .sgpr_spill_count: 0
    .symbol:         _ZL11k_bin_bcastIXadL_ZL6op_addffEEfffJPKfEEvPKT0_PKT1_PT2_iii15HIP_vector_typeIjLj3EESB_SB_SB_SB_iiiiiiiiiiiDpT3_.kd
    .uniform_work_group_size: 1
    .uses_dynamic_stack: false
    .vgpr_count:     15
    .vgpr_spill_count: 0
    .wavefront_size: 32
    .workgroup_processor_mode: 1
  - .args:
      - .address_space:  global
        .offset:         0
        .size:           8
        .value_kind:     global_buffer
      - .address_space:  global
        .offset:         8
        .size:           8
        .value_kind:     global_buffer
      - .address_space:  global
        .offset:         16
        .size:           8
        .value_kind:     global_buffer
      - .offset:         24
        .size:           12
        .value_kind:     by_value
      - .offset:         36
        .size:           12
        .value_kind:     by_value
      - .offset:         48
        .size:           12
        .value_kind:     by_value
      - .offset:         60
        .size:           4
        .value_kind:     by_value
      - .offset:         64
        .size:           12
        .value_kind:     by_value
      - .offset:         76
        .size:           12
        .value_kind:     by_value
      - .offset:         88
        .size:           12
        .value_kind:     by_value
      - .offset:         100
        .size:           12
        .value_kind:     by_value
      - .offset:         112
        .size:           12
        .value_kind:     by_value
      - .offset:         124
        .size:           12
        .value_kind:     by_value
      - .offset:         136
        .size:           4
        .value_kind:     by_value
      - .offset:         140
        .size:           4
        .value_kind:     by_value
      - .offset:         144
        .size:           4
        .value_kind:     by_value
      - .offset:         148
        .size:           4
        .value_kind:     by_value
      - .offset:         152
        .size:           4
        .value_kind:     by_value
      - .offset:         156
        .size:           4
        .value_kind:     by_value
      - .offset:         160
        .size:           4
        .value_kind:     by_value
      - .offset:         164
        .size:           4
        .value_kind:     by_value
      - .offset:         168
        .size:           4
        .value_kind:     by_value
      - .offset:         172
        .size:           4
        .value_kind:     by_value
      - .offset:         176
        .size:           4
        .value_kind:     by_value
      - .address_space:  global
        .offset:         184
        .size:           8
        .value_kind:     global_buffer
      - .offset:         192
        .size:           4
        .value_kind:     hidden_block_count_x
      - .offset:         196
        .size:           4
        .value_kind:     hidden_block_count_y
      - .offset:         200
        .size:           4
        .value_kind:     hidden_block_count_z
      - .offset:         204
        .size:           2
        .value_kind:     hidden_group_size_x
      - .offset:         206
        .size:           2
        .value_kind:     hidden_group_size_y
      - .offset:         208
        .size:           2
        .value_kind:     hidden_group_size_z
      - .offset:         210
        .size:           2
        .value_kind:     hidden_remainder_x
      - .offset:         212
        .size:           2
        .value_kind:     hidden_remainder_y
      - .offset:         214
        .size:           2
        .value_kind:     hidden_remainder_z
      - .offset:         232
        .size:           8
        .value_kind:     hidden_global_offset_x
      - .offset:         240
        .size:           8
        .value_kind:     hidden_global_offset_y
      - .offset:         248
        .size:           8
        .value_kind:     hidden_global_offset_z
      - .offset:         256
        .size:           2
        .value_kind:     hidden_grid_dims
    .group_segment_fixed_size: 0
    .kernarg_segment_align: 8
    .kernarg_segment_size: 448
    .language:       OpenCL C
    .language_version:
      - 2
      - 0
    .max_flat_workgroup_size: 1024
    .name:           _ZL19k_bin_bcast_unravelIXadL_ZL6op_addffEE6__halfS0_S0_JPKS0_EEvPKT0_PKT1_PT2_15HIP_vector_typeIjLj3EESC_SC_jSC_SC_SC_SC_SC_SC_iiiiiiiiiiiDpT3_
    .private_segment_fixed_size: 0
    .sgpr_count:     30
    .sgpr_spill_count: 0
    .symbol:         _ZL19k_bin_bcast_unravelIXadL_ZL6op_addffEE6__halfS0_S0_JPKS0_EEvPKT0_PKT1_PT2_15HIP_vector_typeIjLj3EESC_SC_jSC_SC_SC_SC_SC_SC_iiiiiiiiiiiDpT3_.kd
    .uniform_work_group_size: 1
    .uses_dynamic_stack: false
    .vgpr_count:     9
    .vgpr_spill_count: 0
    .wavefront_size: 32
    .workgroup_processor_mode: 1
  - .args:
      - .address_space:  global
        .offset:         0
        .size:           8
        .value_kind:     global_buffer
      - .address_space:  global
        .offset:         8
        .size:           8
        .value_kind:     global_buffer
      - .address_space:  global
        .offset:         16
        .size:           8
        .value_kind:     global_buffer
      - .offset:         24
        .size:           4
        .value_kind:     by_value
      - .offset:         28
        .size:           4
        .value_kind:     by_value
      - .offset:         32
        .size:           4
        .value_kind:     by_value
      - .offset:         36
        .size:           12
        .value_kind:     by_value
      - .offset:         48
        .size:           12
        .value_kind:     by_value
      - .offset:         60
        .size:           12
        .value_kind:     by_value
      - .offset:         72
        .size:           12
        .value_kind:     by_value
      - .offset:         84
        .size:           12
        .value_kind:     by_value
      - .offset:         96
        .size:           4
        .value_kind:     by_value
      - .offset:         100
        .size:           4
        .value_kind:     by_value
      - .offset:         104
        .size:           4
        .value_kind:     by_value
      - .offset:         108
        .size:           4
        .value_kind:     by_value
      - .offset:         112
        .size:           4
        .value_kind:     by_value
      - .offset:         116
        .size:           4
        .value_kind:     by_value
      - .offset:         120
        .size:           4
        .value_kind:     by_value
      - .offset:         124
        .size:           4
        .value_kind:     by_value
      - .offset:         128
        .size:           4
        .value_kind:     by_value
      - .offset:         132
        .size:           4
        .value_kind:     by_value
      - .offset:         136
        .size:           4
        .value_kind:     by_value
      - .address_space:  global
        .offset:         144
        .size:           8
        .value_kind:     global_buffer
      - .offset:         152
        .size:           4
        .value_kind:     hidden_block_count_x
      - .offset:         156
        .size:           4
        .value_kind:     hidden_block_count_y
      - .offset:         160
        .size:           4
        .value_kind:     hidden_block_count_z
      - .offset:         164
        .size:           2
        .value_kind:     hidden_group_size_x
      - .offset:         166
        .size:           2
        .value_kind:     hidden_group_size_y
      - .offset:         168
        .size:           2
        .value_kind:     hidden_group_size_z
      - .offset:         170
        .size:           2
        .value_kind:     hidden_remainder_x
      - .offset:         172
        .size:           2
        .value_kind:     hidden_remainder_y
      - .offset:         174
        .size:           2
        .value_kind:     hidden_remainder_z
      - .offset:         192
        .size:           8
        .value_kind:     hidden_global_offset_x
      - .offset:         200
        .size:           8
        .value_kind:     hidden_global_offset_y
      - .offset:         208
        .size:           8
        .value_kind:     hidden_global_offset_z
      - .offset:         216
        .size:           2
        .value_kind:     hidden_grid_dims
    .group_segment_fixed_size: 0
    .kernarg_segment_align: 8
    .kernarg_segment_size: 408
    .language:       OpenCL C
    .language_version:
      - 2
      - 0
    .max_flat_workgroup_size: 1024
    .name:           _ZL11k_bin_bcastIXadL_ZL6op_addffEE6__halfS0_S0_JPKS0_EEvPKT0_PKT1_PT2_iii15HIP_vector_typeIjLj3EESC_SC_SC_SC_iiiiiiiiiiiDpT3_
    .private_segment_fixed_size: 0
    .sgpr_count:     46
    .sgpr_spill_count: 0
    .symbol:         _ZL11k_bin_bcastIXadL_ZL6op_addffEE6__halfS0_S0_JPKS0_EEvPKT0_PKT1_PT2_iii15HIP_vector_typeIjLj3EESC_SC_SC_SC_iiiiiiiiiiiDpT3_.kd
    .uniform_work_group_size: 1
    .uses_dynamic_stack: false
    .vgpr_count:     15
    .vgpr_spill_count: 0
    .wavefront_size: 32
    .workgroup_processor_mode: 1
  - .args:
      - .address_space:  global
        .offset:         0
        .size:           8
        .value_kind:     global_buffer
      - .address_space:  global
        .offset:         8
        .size:           8
        .value_kind:     global_buffer
      - .address_space:  global
        .offset:         16
        .size:           8
        .value_kind:     global_buffer
      - .offset:         24
        .size:           12
        .value_kind:     by_value
      - .offset:         36
        .size:           12
        .value_kind:     by_value
      - .offset:         48
        .size:           12
        .value_kind:     by_value
      - .offset:         60
        .size:           4
        .value_kind:     by_value
      - .offset:         64
        .size:           12
        .value_kind:     by_value
      - .offset:         76
        .size:           12
        .value_kind:     by_value
      - .offset:         88
        .size:           12
        .value_kind:     by_value
      - .offset:         100
        .size:           12
        .value_kind:     by_value
      - .offset:         112
        .size:           12
        .value_kind:     by_value
      - .offset:         124
        .size:           12
        .value_kind:     by_value
      - .offset:         136
        .size:           4
        .value_kind:     by_value
      - .offset:         140
        .size:           4
        .value_kind:     by_value
      - .offset:         144
        .size:           4
        .value_kind:     by_value
      - .offset:         148
        .size:           4
        .value_kind:     by_value
      - .offset:         152
        .size:           4
        .value_kind:     by_value
      - .offset:         156
        .size:           4
        .value_kind:     by_value
      - .offset:         160
        .size:           4
        .value_kind:     by_value
      - .offset:         164
        .size:           4
        .value_kind:     by_value
      - .offset:         168
        .size:           4
        .value_kind:     by_value
      - .offset:         172
        .size:           4
        .value_kind:     by_value
      - .offset:         176
        .size:           4
        .value_kind:     by_value
      - .address_space:  global
        .offset:         184
        .size:           8
        .value_kind:     global_buffer
      - .offset:         192
        .size:           4
        .value_kind:     hidden_block_count_x
      - .offset:         196
        .size:           4
        .value_kind:     hidden_block_count_y
      - .offset:         200
        .size:           4
        .value_kind:     hidden_block_count_z
      - .offset:         204
        .size:           2
        .value_kind:     hidden_group_size_x
      - .offset:         206
        .size:           2
        .value_kind:     hidden_group_size_y
      - .offset:         208
        .size:           2
        .value_kind:     hidden_group_size_z
      - .offset:         210
        .size:           2
        .value_kind:     hidden_remainder_x
      - .offset:         212
        .size:           2
        .value_kind:     hidden_remainder_y
      - .offset:         214
        .size:           2
        .value_kind:     hidden_remainder_z
      - .offset:         232
        .size:           8
        .value_kind:     hidden_global_offset_x
      - .offset:         240
        .size:           8
        .value_kind:     hidden_global_offset_y
      - .offset:         248
        .size:           8
        .value_kind:     hidden_global_offset_z
      - .offset:         256
        .size:           2
        .value_kind:     hidden_grid_dims
    .group_segment_fixed_size: 0
    .kernarg_segment_align: 8
    .kernarg_segment_size: 448
    .language:       OpenCL C
    .language_version:
      - 2
      - 0
    .max_flat_workgroup_size: 1024
    .name:           _ZL19k_bin_bcast_unravelIXadL_ZL6op_addffEE6__halffS0_JPKfEEvPKT0_PKT1_PT2_15HIP_vector_typeIjLj3EESC_SC_jSC_SC_SC_SC_SC_SC_iiiiiiiiiiiDpT3_
    .private_segment_fixed_size: 0
    .sgpr_count:     30
    .sgpr_spill_count: 0
    .symbol:         _ZL19k_bin_bcast_unravelIXadL_ZL6op_addffEE6__halffS0_JPKfEEvPKT0_PKT1_PT2_15HIP_vector_typeIjLj3EESC_SC_jSC_SC_SC_SC_SC_SC_iiiiiiiiiiiDpT3_.kd
    .uniform_work_group_size: 1
    .uses_dynamic_stack: false
    .vgpr_count:     9
    .vgpr_spill_count: 0
    .wavefront_size: 32
    .workgroup_processor_mode: 1
  - .args:
      - .address_space:  global
        .offset:         0
        .size:           8
        .value_kind:     global_buffer
      - .address_space:  global
        .offset:         8
        .size:           8
        .value_kind:     global_buffer
      - .address_space:  global
        .offset:         16
        .size:           8
        .value_kind:     global_buffer
      - .offset:         24
        .size:           4
        .value_kind:     by_value
      - .offset:         28
        .size:           4
        .value_kind:     by_value
      - .offset:         32
        .size:           4
        .value_kind:     by_value
      - .offset:         36
        .size:           12
        .value_kind:     by_value
      - .offset:         48
        .size:           12
        .value_kind:     by_value
      - .offset:         60
        .size:           12
        .value_kind:     by_value
      - .offset:         72
        .size:           12
        .value_kind:     by_value
      - .offset:         84
        .size:           12
        .value_kind:     by_value
      - .offset:         96
        .size:           4
        .value_kind:     by_value
      - .offset:         100
        .size:           4
        .value_kind:     by_value
      - .offset:         104
        .size:           4
        .value_kind:     by_value
      - .offset:         108
        .size:           4
        .value_kind:     by_value
      - .offset:         112
        .size:           4
        .value_kind:     by_value
      - .offset:         116
        .size:           4
        .value_kind:     by_value
      - .offset:         120
        .size:           4
        .value_kind:     by_value
      - .offset:         124
        .size:           4
        .value_kind:     by_value
      - .offset:         128
        .size:           4
        .value_kind:     by_value
      - .offset:         132
        .size:           4
        .value_kind:     by_value
      - .offset:         136
        .size:           4
        .value_kind:     by_value
      - .address_space:  global
        .offset:         144
        .size:           8
        .value_kind:     global_buffer
      - .offset:         152
        .size:           4
        .value_kind:     hidden_block_count_x
      - .offset:         156
        .size:           4
        .value_kind:     hidden_block_count_y
      - .offset:         160
        .size:           4
        .value_kind:     hidden_block_count_z
      - .offset:         164
        .size:           2
        .value_kind:     hidden_group_size_x
      - .offset:         166
        .size:           2
        .value_kind:     hidden_group_size_y
      - .offset:         168
        .size:           2
        .value_kind:     hidden_group_size_z
      - .offset:         170
        .size:           2
        .value_kind:     hidden_remainder_x
      - .offset:         172
        .size:           2
        .value_kind:     hidden_remainder_y
      - .offset:         174
        .size:           2
        .value_kind:     hidden_remainder_z
      - .offset:         192
        .size:           8
        .value_kind:     hidden_global_offset_x
      - .offset:         200
        .size:           8
        .value_kind:     hidden_global_offset_y
      - .offset:         208
        .size:           8
        .value_kind:     hidden_global_offset_z
      - .offset:         216
        .size:           2
        .value_kind:     hidden_grid_dims
    .group_segment_fixed_size: 0
    .kernarg_segment_align: 8
    .kernarg_segment_size: 408
    .language:       OpenCL C
    .language_version:
      - 2
      - 0
    .max_flat_workgroup_size: 1024
    .name:           _ZL11k_bin_bcastIXadL_ZL6op_addffEE6__halffS0_JPKfEEvPKT0_PKT1_PT2_iii15HIP_vector_typeIjLj3EESC_SC_SC_SC_iiiiiiiiiiiDpT3_
    .private_segment_fixed_size: 0
    .sgpr_count:     46
    .sgpr_spill_count: 0
    .symbol:         _ZL11k_bin_bcastIXadL_ZL6op_addffEE6__halffS0_JPKfEEvPKT0_PKT1_PT2_iii15HIP_vector_typeIjLj3EESC_SC_SC_SC_iiiiiiiiiiiDpT3_.kd
    .uniform_work_group_size: 1
    .uses_dynamic_stack: false
    .vgpr_count:     15
    .vgpr_spill_count: 0
    .wavefront_size: 32
    .workgroup_processor_mode: 1
  - .args:
      - .address_space:  global
        .offset:         0
        .size:           8
        .value_kind:     global_buffer
      - .address_space:  global
        .offset:         8
        .size:           8
        .value_kind:     global_buffer
      - .address_space:  global
        .offset:         16
        .size:           8
        .value_kind:     global_buffer
      - .offset:         24
        .size:           12
        .value_kind:     by_value
      - .offset:         36
        .size:           12
        .value_kind:     by_value
      - .offset:         48
        .size:           12
        .value_kind:     by_value
      - .offset:         60
        .size:           4
        .value_kind:     by_value
      - .offset:         64
        .size:           12
        .value_kind:     by_value
      - .offset:         76
        .size:           12
        .value_kind:     by_value
      - .offset:         88
        .size:           12
        .value_kind:     by_value
      - .offset:         100
        .size:           12
        .value_kind:     by_value
      - .offset:         112
        .size:           12
        .value_kind:     by_value
      - .offset:         124
        .size:           12
        .value_kind:     by_value
      - .offset:         136
        .size:           4
        .value_kind:     by_value
      - .offset:         140
        .size:           4
        .value_kind:     by_value
      - .offset:         144
        .size:           4
        .value_kind:     by_value
      - .offset:         148
        .size:           4
        .value_kind:     by_value
      - .offset:         152
        .size:           4
        .value_kind:     by_value
      - .offset:         156
        .size:           4
        .value_kind:     by_value
      - .offset:         160
        .size:           4
        .value_kind:     by_value
      - .offset:         164
        .size:           4
        .value_kind:     by_value
      - .offset:         168
        .size:           4
        .value_kind:     by_value
      - .offset:         172
        .size:           4
        .value_kind:     by_value
      - .offset:         176
        .size:           4
        .value_kind:     by_value
      - .address_space:  global
        .offset:         184
        .size:           8
        .value_kind:     global_buffer
      - .offset:         192
        .size:           4
        .value_kind:     hidden_block_count_x
      - .offset:         196
        .size:           4
        .value_kind:     hidden_block_count_y
      - .offset:         200
        .size:           4
        .value_kind:     hidden_block_count_z
      - .offset:         204
        .size:           2
        .value_kind:     hidden_group_size_x
      - .offset:         206
        .size:           2
        .value_kind:     hidden_group_size_y
      - .offset:         208
        .size:           2
        .value_kind:     hidden_group_size_z
      - .offset:         210
        .size:           2
        .value_kind:     hidden_remainder_x
      - .offset:         212
        .size:           2
        .value_kind:     hidden_remainder_y
      - .offset:         214
        .size:           2
        .value_kind:     hidden_remainder_z
      - .offset:         232
        .size:           8
        .value_kind:     hidden_global_offset_x
      - .offset:         240
        .size:           8
        .value_kind:     hidden_global_offset_y
      - .offset:         248
        .size:           8
        .value_kind:     hidden_global_offset_z
      - .offset:         256
        .size:           2
        .value_kind:     hidden_grid_dims
    .group_segment_fixed_size: 0
    .kernarg_segment_align: 8
    .kernarg_segment_size: 448
    .language:       OpenCL C
    .language_version:
      - 2
      - 0
    .max_flat_workgroup_size: 1024
    .name:           _ZL19k_bin_bcast_unravelIXadL_ZL6op_addffEE6__halfffJPKfEEvPKT0_PKT1_PT2_15HIP_vector_typeIjLj3EESC_SC_jSC_SC_SC_SC_SC_SC_iiiiiiiiiiiDpT3_
    .private_segment_fixed_size: 0
    .sgpr_count:     30
    .sgpr_spill_count: 0
    .symbol:         _ZL19k_bin_bcast_unravelIXadL_ZL6op_addffEE6__halfffJPKfEEvPKT0_PKT1_PT2_15HIP_vector_typeIjLj3EESC_SC_jSC_SC_SC_SC_SC_SC_iiiiiiiiiiiDpT3_.kd
    .uniform_work_group_size: 1
    .uses_dynamic_stack: false
    .vgpr_count:     9
    .vgpr_spill_count: 0
    .wavefront_size: 32
    .workgroup_processor_mode: 1
  - .args:
      - .address_space:  global
        .offset:         0
        .size:           8
        .value_kind:     global_buffer
      - .address_space:  global
        .offset:         8
        .size:           8
        .value_kind:     global_buffer
      - .address_space:  global
        .offset:         16
        .size:           8
        .value_kind:     global_buffer
      - .offset:         24
        .size:           4
        .value_kind:     by_value
      - .offset:         28
        .size:           4
        .value_kind:     by_value
      - .offset:         32
        .size:           4
        .value_kind:     by_value
      - .offset:         36
        .size:           12
        .value_kind:     by_value
      - .offset:         48
        .size:           12
        .value_kind:     by_value
      - .offset:         60
        .size:           12
        .value_kind:     by_value
      - .offset:         72
        .size:           12
        .value_kind:     by_value
      - .offset:         84
        .size:           12
        .value_kind:     by_value
      - .offset:         96
        .size:           4
        .value_kind:     by_value
      - .offset:         100
        .size:           4
        .value_kind:     by_value
      - .offset:         104
        .size:           4
        .value_kind:     by_value
      - .offset:         108
        .size:           4
        .value_kind:     by_value
      - .offset:         112
        .size:           4
        .value_kind:     by_value
      - .offset:         116
        .size:           4
        .value_kind:     by_value
      - .offset:         120
        .size:           4
        .value_kind:     by_value
      - .offset:         124
        .size:           4
        .value_kind:     by_value
      - .offset:         128
        .size:           4
        .value_kind:     by_value
      - .offset:         132
        .size:           4
        .value_kind:     by_value
      - .offset:         136
        .size:           4
        .value_kind:     by_value
      - .address_space:  global
        .offset:         144
        .size:           8
        .value_kind:     global_buffer
      - .offset:         152
        .size:           4
        .value_kind:     hidden_block_count_x
      - .offset:         156
        .size:           4
        .value_kind:     hidden_block_count_y
      - .offset:         160
        .size:           4
        .value_kind:     hidden_block_count_z
      - .offset:         164
        .size:           2
        .value_kind:     hidden_group_size_x
      - .offset:         166
        .size:           2
        .value_kind:     hidden_group_size_y
      - .offset:         168
        .size:           2
        .value_kind:     hidden_group_size_z
      - .offset:         170
        .size:           2
        .value_kind:     hidden_remainder_x
      - .offset:         172
        .size:           2
        .value_kind:     hidden_remainder_y
      - .offset:         174
        .size:           2
        .value_kind:     hidden_remainder_z
      - .offset:         192
        .size:           8
        .value_kind:     hidden_global_offset_x
      - .offset:         200
        .size:           8
        .value_kind:     hidden_global_offset_y
      - .offset:         208
        .size:           8
        .value_kind:     hidden_global_offset_z
      - .offset:         216
        .size:           2
        .value_kind:     hidden_grid_dims
    .group_segment_fixed_size: 0
    .kernarg_segment_align: 8
    .kernarg_segment_size: 408
    .language:       OpenCL C
    .language_version:
      - 2
      - 0
    .max_flat_workgroup_size: 1024
    .name:           _ZL11k_bin_bcastIXadL_ZL6op_addffEE6__halfffJPKfEEvPKT0_PKT1_PT2_iii15HIP_vector_typeIjLj3EESC_SC_SC_SC_iiiiiiiiiiiDpT3_
    .private_segment_fixed_size: 0
    .sgpr_count:     46
    .sgpr_spill_count: 0
    .symbol:         _ZL11k_bin_bcastIXadL_ZL6op_addffEE6__halfffJPKfEEvPKT0_PKT1_PT2_iii15HIP_vector_typeIjLj3EESC_SC_SC_SC_iiiiiiiiiiiDpT3_.kd
    .uniform_work_group_size: 1
    .uses_dynamic_stack: false
    .vgpr_count:     15
    .vgpr_spill_count: 0
    .wavefront_size: 32
    .workgroup_processor_mode: 1
  - .args:
      - .address_space:  global
        .offset:         0
        .size:           8
        .value_kind:     global_buffer
      - .address_space:  global
        .offset:         8
        .size:           8
        .value_kind:     global_buffer
      - .address_space:  global
        .offset:         16
        .size:           8
        .value_kind:     global_buffer
      - .offset:         24
        .size:           12
        .value_kind:     by_value
      - .offset:         36
        .size:           12
        .value_kind:     by_value
      - .offset:         48
        .size:           12
        .value_kind:     by_value
      - .offset:         60
        .size:           4
        .value_kind:     by_value
      - .offset:         64
        .size:           12
        .value_kind:     by_value
      - .offset:         76
        .size:           12
        .value_kind:     by_value
      - .offset:         88
        .size:           12
        .value_kind:     by_value
      - .offset:         100
        .size:           12
        .value_kind:     by_value
      - .offset:         112
        .size:           12
        .value_kind:     by_value
      - .offset:         124
        .size:           12
        .value_kind:     by_value
      - .offset:         136
        .size:           4
        .value_kind:     by_value
      - .offset:         140
        .size:           4
        .value_kind:     by_value
      - .offset:         144
        .size:           4
        .value_kind:     by_value
      - .offset:         148
        .size:           4
        .value_kind:     by_value
      - .offset:         152
        .size:           4
        .value_kind:     by_value
      - .offset:         156
        .size:           4
        .value_kind:     by_value
      - .offset:         160
        .size:           4
        .value_kind:     by_value
      - .offset:         164
        .size:           4
        .value_kind:     by_value
      - .offset:         168
        .size:           4
        .value_kind:     by_value
      - .offset:         172
        .size:           4
        .value_kind:     by_value
      - .offset:         176
        .size:           4
        .value_kind:     by_value
      - .address_space:  global
        .offset:         184
        .size:           8
        .value_kind:     global_buffer
      - .offset:         192
        .size:           4
        .value_kind:     hidden_block_count_x
      - .offset:         196
        .size:           4
        .value_kind:     hidden_block_count_y
      - .offset:         200
        .size:           4
        .value_kind:     hidden_block_count_z
      - .offset:         204
        .size:           2
        .value_kind:     hidden_group_size_x
      - .offset:         206
        .size:           2
        .value_kind:     hidden_group_size_y
      - .offset:         208
        .size:           2
        .value_kind:     hidden_group_size_z
      - .offset:         210
        .size:           2
        .value_kind:     hidden_remainder_x
      - .offset:         212
        .size:           2
        .value_kind:     hidden_remainder_y
      - .offset:         214
        .size:           2
        .value_kind:     hidden_remainder_z
      - .offset:         232
        .size:           8
        .value_kind:     hidden_global_offset_x
      - .offset:         240
        .size:           8
        .value_kind:     hidden_global_offset_y
      - .offset:         248
        .size:           8
        .value_kind:     hidden_global_offset_z
      - .offset:         256
        .size:           2
        .value_kind:     hidden_grid_dims
    .group_segment_fixed_size: 0
    .kernarg_segment_align: 8
    .kernarg_segment_size: 448
    .language:       OpenCL C
    .language_version:
      - 2
      - 0
    .max_flat_workgroup_size: 1024
    .name:           _ZL19k_bin_bcast_unravelIXadL_ZL6op_subffEEfffJPKfEEvPKT0_PKT1_PT2_15HIP_vector_typeIjLj3EESB_SB_jSB_SB_SB_SB_SB_SB_iiiiiiiiiiiDpT3_
    .private_segment_fixed_size: 0
    .sgpr_count:     30
    .sgpr_spill_count: 0
    .symbol:         _ZL19k_bin_bcast_unravelIXadL_ZL6op_subffEEfffJPKfEEvPKT0_PKT1_PT2_15HIP_vector_typeIjLj3EESB_SB_jSB_SB_SB_SB_SB_SB_iiiiiiiiiiiDpT3_.kd
    .uniform_work_group_size: 1
    .uses_dynamic_stack: false
    .vgpr_count:     9
    .vgpr_spill_count: 0
    .wavefront_size: 32
    .workgroup_processor_mode: 1
  - .args:
      - .address_space:  global
        .offset:         0
        .size:           8
        .value_kind:     global_buffer
      - .address_space:  global
        .offset:         8
        .size:           8
        .value_kind:     global_buffer
      - .address_space:  global
        .offset:         16
        .size:           8
        .value_kind:     global_buffer
      - .offset:         24
        .size:           4
        .value_kind:     by_value
      - .offset:         28
        .size:           4
        .value_kind:     by_value
      - .offset:         32
        .size:           4
        .value_kind:     by_value
      - .offset:         36
        .size:           12
        .value_kind:     by_value
      - .offset:         48
        .size:           12
        .value_kind:     by_value
      - .offset:         60
        .size:           12
        .value_kind:     by_value
      - .offset:         72
        .size:           12
        .value_kind:     by_value
      - .offset:         84
        .size:           12
        .value_kind:     by_value
      - .offset:         96
        .size:           4
        .value_kind:     by_value
      - .offset:         100
        .size:           4
        .value_kind:     by_value
      - .offset:         104
        .size:           4
        .value_kind:     by_value
      - .offset:         108
        .size:           4
        .value_kind:     by_value
      - .offset:         112
        .size:           4
        .value_kind:     by_value
      - .offset:         116
        .size:           4
        .value_kind:     by_value
      - .offset:         120
        .size:           4
        .value_kind:     by_value
      - .offset:         124
        .size:           4
        .value_kind:     by_value
      - .offset:         128
        .size:           4
        .value_kind:     by_value
      - .offset:         132
        .size:           4
        .value_kind:     by_value
      - .offset:         136
        .size:           4
        .value_kind:     by_value
      - .address_space:  global
        .offset:         144
        .size:           8
        .value_kind:     global_buffer
      - .offset:         152
        .size:           4
        .value_kind:     hidden_block_count_x
      - .offset:         156
        .size:           4
        .value_kind:     hidden_block_count_y
      - .offset:         160
        .size:           4
        .value_kind:     hidden_block_count_z
      - .offset:         164
        .size:           2
        .value_kind:     hidden_group_size_x
      - .offset:         166
        .size:           2
        .value_kind:     hidden_group_size_y
      - .offset:         168
        .size:           2
        .value_kind:     hidden_group_size_z
      - .offset:         170
        .size:           2
        .value_kind:     hidden_remainder_x
      - .offset:         172
        .size:           2
        .value_kind:     hidden_remainder_y
      - .offset:         174
        .size:           2
        .value_kind:     hidden_remainder_z
      - .offset:         192
        .size:           8
        .value_kind:     hidden_global_offset_x
      - .offset:         200
        .size:           8
        .value_kind:     hidden_global_offset_y
      - .offset:         208
        .size:           8
        .value_kind:     hidden_global_offset_z
      - .offset:         216
        .size:           2
        .value_kind:     hidden_grid_dims
    .group_segment_fixed_size: 0
    .kernarg_segment_align: 8
    .kernarg_segment_size: 408
    .language:       OpenCL C
    .language_version:
      - 2
      - 0
    .max_flat_workgroup_size: 1024
    .name:           _ZL11k_bin_bcastIXadL_ZL6op_subffEEfffJPKfEEvPKT0_PKT1_PT2_iii15HIP_vector_typeIjLj3EESB_SB_SB_SB_iiiiiiiiiiiDpT3_
    .private_segment_fixed_size: 0
    .sgpr_count:     46
    .sgpr_spill_count: 0
    .symbol:         _ZL11k_bin_bcastIXadL_ZL6op_subffEEfffJPKfEEvPKT0_PKT1_PT2_iii15HIP_vector_typeIjLj3EESB_SB_SB_SB_iiiiiiiiiiiDpT3_.kd
    .uniform_work_group_size: 1
    .uses_dynamic_stack: false
    .vgpr_count:     15
    .vgpr_spill_count: 0
    .wavefront_size: 32
    .workgroup_processor_mode: 1
  - .args:
      - .address_space:  global
        .offset:         0
        .size:           8
        .value_kind:     global_buffer
      - .address_space:  global
        .offset:         8
        .size:           8
        .value_kind:     global_buffer
      - .address_space:  global
        .offset:         16
        .size:           8
        .value_kind:     global_buffer
      - .offset:         24
        .size:           12
        .value_kind:     by_value
      - .offset:         36
        .size:           12
        .value_kind:     by_value
      - .offset:         48
        .size:           12
        .value_kind:     by_value
      - .offset:         60
        .size:           4
        .value_kind:     by_value
      - .offset:         64
        .size:           12
        .value_kind:     by_value
      - .offset:         76
        .size:           12
        .value_kind:     by_value
      - .offset:         88
        .size:           12
        .value_kind:     by_value
      - .offset:         100
        .size:           12
        .value_kind:     by_value
      - .offset:         112
        .size:           12
        .value_kind:     by_value
      - .offset:         124
        .size:           12
        .value_kind:     by_value
      - .offset:         136
        .size:           4
        .value_kind:     by_value
      - .offset:         140
        .size:           4
        .value_kind:     by_value
      - .offset:         144
        .size:           4
        .value_kind:     by_value
      - .offset:         148
        .size:           4
        .value_kind:     by_value
      - .offset:         152
        .size:           4
        .value_kind:     by_value
      - .offset:         156
        .size:           4
        .value_kind:     by_value
      - .offset:         160
        .size:           4
        .value_kind:     by_value
      - .offset:         164
        .size:           4
        .value_kind:     by_value
      - .offset:         168
        .size:           4
        .value_kind:     by_value
      - .offset:         172
        .size:           4
        .value_kind:     by_value
      - .offset:         176
        .size:           4
        .value_kind:     by_value
      - .address_space:  global
        .offset:         184
        .size:           8
        .value_kind:     global_buffer
      - .offset:         192
        .size:           4
        .value_kind:     hidden_block_count_x
      - .offset:         196
        .size:           4
        .value_kind:     hidden_block_count_y
      - .offset:         200
        .size:           4
        .value_kind:     hidden_block_count_z
      - .offset:         204
        .size:           2
        .value_kind:     hidden_group_size_x
      - .offset:         206
        .size:           2
        .value_kind:     hidden_group_size_y
      - .offset:         208
        .size:           2
        .value_kind:     hidden_group_size_z
      - .offset:         210
        .size:           2
        .value_kind:     hidden_remainder_x
      - .offset:         212
        .size:           2
        .value_kind:     hidden_remainder_y
      - .offset:         214
        .size:           2
        .value_kind:     hidden_remainder_z
      - .offset:         232
        .size:           8
        .value_kind:     hidden_global_offset_x
      - .offset:         240
        .size:           8
        .value_kind:     hidden_global_offset_y
      - .offset:         248
        .size:           8
        .value_kind:     hidden_global_offset_z
      - .offset:         256
        .size:           2
        .value_kind:     hidden_grid_dims
    .group_segment_fixed_size: 0
    .kernarg_segment_align: 8
    .kernarg_segment_size: 448
    .language:       OpenCL C
    .language_version:
      - 2
      - 0
    .max_flat_workgroup_size: 1024
    .name:           _ZL19k_bin_bcast_unravelIXadL_ZL6op_subffEE6__halfS0_S0_JPKS0_EEvPKT0_PKT1_PT2_15HIP_vector_typeIjLj3EESC_SC_jSC_SC_SC_SC_SC_SC_iiiiiiiiiiiDpT3_
    .private_segment_fixed_size: 0
    .sgpr_count:     30
    .sgpr_spill_count: 0
    .symbol:         _ZL19k_bin_bcast_unravelIXadL_ZL6op_subffEE6__halfS0_S0_JPKS0_EEvPKT0_PKT1_PT2_15HIP_vector_typeIjLj3EESC_SC_jSC_SC_SC_SC_SC_SC_iiiiiiiiiiiDpT3_.kd
    .uniform_work_group_size: 1
    .uses_dynamic_stack: false
    .vgpr_count:     9
    .vgpr_spill_count: 0
    .wavefront_size: 32
    .workgroup_processor_mode: 1
  - .args:
      - .address_space:  global
        .offset:         0
        .size:           8
        .value_kind:     global_buffer
      - .address_space:  global
        .offset:         8
        .size:           8
        .value_kind:     global_buffer
      - .address_space:  global
        .offset:         16
        .size:           8
        .value_kind:     global_buffer
      - .offset:         24
        .size:           4
        .value_kind:     by_value
      - .offset:         28
        .size:           4
        .value_kind:     by_value
      - .offset:         32
        .size:           4
        .value_kind:     by_value
      - .offset:         36
        .size:           12
        .value_kind:     by_value
      - .offset:         48
        .size:           12
        .value_kind:     by_value
      - .offset:         60
        .size:           12
        .value_kind:     by_value
      - .offset:         72
        .size:           12
        .value_kind:     by_value
      - .offset:         84
        .size:           12
        .value_kind:     by_value
      - .offset:         96
        .size:           4
        .value_kind:     by_value
      - .offset:         100
        .size:           4
        .value_kind:     by_value
      - .offset:         104
        .size:           4
        .value_kind:     by_value
      - .offset:         108
        .size:           4
        .value_kind:     by_value
      - .offset:         112
        .size:           4
        .value_kind:     by_value
      - .offset:         116
        .size:           4
        .value_kind:     by_value
      - .offset:         120
        .size:           4
        .value_kind:     by_value
      - .offset:         124
        .size:           4
        .value_kind:     by_value
      - .offset:         128
        .size:           4
        .value_kind:     by_value
      - .offset:         132
        .size:           4
        .value_kind:     by_value
      - .offset:         136
        .size:           4
        .value_kind:     by_value
      - .address_space:  global
        .offset:         144
        .size:           8
        .value_kind:     global_buffer
      - .offset:         152
        .size:           4
        .value_kind:     hidden_block_count_x
      - .offset:         156
        .size:           4
        .value_kind:     hidden_block_count_y
      - .offset:         160
        .size:           4
        .value_kind:     hidden_block_count_z
      - .offset:         164
        .size:           2
        .value_kind:     hidden_group_size_x
      - .offset:         166
        .size:           2
        .value_kind:     hidden_group_size_y
      - .offset:         168
        .size:           2
        .value_kind:     hidden_group_size_z
      - .offset:         170
        .size:           2
        .value_kind:     hidden_remainder_x
      - .offset:         172
        .size:           2
        .value_kind:     hidden_remainder_y
      - .offset:         174
        .size:           2
        .value_kind:     hidden_remainder_z
      - .offset:         192
        .size:           8
        .value_kind:     hidden_global_offset_x
      - .offset:         200
        .size:           8
        .value_kind:     hidden_global_offset_y
      - .offset:         208
        .size:           8
        .value_kind:     hidden_global_offset_z
      - .offset:         216
        .size:           2
        .value_kind:     hidden_grid_dims
    .group_segment_fixed_size: 0
    .kernarg_segment_align: 8
    .kernarg_segment_size: 408
    .language:       OpenCL C
    .language_version:
      - 2
      - 0
    .max_flat_workgroup_size: 1024
    .name:           _ZL11k_bin_bcastIXadL_ZL6op_subffEE6__halfS0_S0_JPKS0_EEvPKT0_PKT1_PT2_iii15HIP_vector_typeIjLj3EESC_SC_SC_SC_iiiiiiiiiiiDpT3_
    .private_segment_fixed_size: 0
    .sgpr_count:     46
    .sgpr_spill_count: 0
    .symbol:         _ZL11k_bin_bcastIXadL_ZL6op_subffEE6__halfS0_S0_JPKS0_EEvPKT0_PKT1_PT2_iii15HIP_vector_typeIjLj3EESC_SC_SC_SC_iiiiiiiiiiiDpT3_.kd
    .uniform_work_group_size: 1
    .uses_dynamic_stack: false
    .vgpr_count:     15
    .vgpr_spill_count: 0
    .wavefront_size: 32
    .workgroup_processor_mode: 1
  - .args:
      - .address_space:  global
        .offset:         0
        .size:           8
        .value_kind:     global_buffer
      - .address_space:  global
        .offset:         8
        .size:           8
        .value_kind:     global_buffer
      - .address_space:  global
        .offset:         16
        .size:           8
        .value_kind:     global_buffer
      - .offset:         24
        .size:           12
        .value_kind:     by_value
      - .offset:         36
        .size:           12
        .value_kind:     by_value
      - .offset:         48
        .size:           12
        .value_kind:     by_value
      - .offset:         60
        .size:           4
        .value_kind:     by_value
      - .offset:         64
        .size:           12
        .value_kind:     by_value
      - .offset:         76
        .size:           12
        .value_kind:     by_value
      - .offset:         88
        .size:           12
        .value_kind:     by_value
      - .offset:         100
        .size:           12
        .value_kind:     by_value
      - .offset:         112
        .size:           12
        .value_kind:     by_value
      - .offset:         124
        .size:           12
        .value_kind:     by_value
      - .offset:         136
        .size:           4
        .value_kind:     by_value
      - .offset:         140
        .size:           4
        .value_kind:     by_value
      - .offset:         144
        .size:           4
        .value_kind:     by_value
      - .offset:         148
        .size:           4
        .value_kind:     by_value
      - .offset:         152
        .size:           4
        .value_kind:     by_value
      - .offset:         156
        .size:           4
        .value_kind:     by_value
      - .offset:         160
        .size:           4
        .value_kind:     by_value
      - .offset:         164
        .size:           4
        .value_kind:     by_value
      - .offset:         168
        .size:           4
        .value_kind:     by_value
      - .offset:         172
        .size:           4
        .value_kind:     by_value
      - .offset:         176
        .size:           4
        .value_kind:     by_value
      - .address_space:  global
        .offset:         184
        .size:           8
        .value_kind:     global_buffer
      - .offset:         192
        .size:           4
        .value_kind:     hidden_block_count_x
      - .offset:         196
        .size:           4
        .value_kind:     hidden_block_count_y
      - .offset:         200
        .size:           4
        .value_kind:     hidden_block_count_z
      - .offset:         204
        .size:           2
        .value_kind:     hidden_group_size_x
      - .offset:         206
        .size:           2
        .value_kind:     hidden_group_size_y
      - .offset:         208
        .size:           2
        .value_kind:     hidden_group_size_z
      - .offset:         210
        .size:           2
        .value_kind:     hidden_remainder_x
      - .offset:         212
        .size:           2
        .value_kind:     hidden_remainder_y
      - .offset:         214
        .size:           2
        .value_kind:     hidden_remainder_z
      - .offset:         232
        .size:           8
        .value_kind:     hidden_global_offset_x
      - .offset:         240
        .size:           8
        .value_kind:     hidden_global_offset_y
      - .offset:         248
        .size:           8
        .value_kind:     hidden_global_offset_z
      - .offset:         256
        .size:           2
        .value_kind:     hidden_grid_dims
    .group_segment_fixed_size: 0
    .kernarg_segment_align: 8
    .kernarg_segment_size: 448
    .language:       OpenCL C
    .language_version:
      - 2
      - 0
    .max_flat_workgroup_size: 1024
    .name:           _ZL19k_bin_bcast_unravelIXadL_ZL6op_subffEE6__halffS0_JPKfEEvPKT0_PKT1_PT2_15HIP_vector_typeIjLj3EESC_SC_jSC_SC_SC_SC_SC_SC_iiiiiiiiiiiDpT3_
    .private_segment_fixed_size: 0
    .sgpr_count:     30
    .sgpr_spill_count: 0
    .symbol:         _ZL19k_bin_bcast_unravelIXadL_ZL6op_subffEE6__halffS0_JPKfEEvPKT0_PKT1_PT2_15HIP_vector_typeIjLj3EESC_SC_jSC_SC_SC_SC_SC_SC_iiiiiiiiiiiDpT3_.kd
    .uniform_work_group_size: 1
    .uses_dynamic_stack: false
    .vgpr_count:     9
    .vgpr_spill_count: 0
    .wavefront_size: 32
    .workgroup_processor_mode: 1
  - .args:
      - .address_space:  global
        .offset:         0
        .size:           8
        .value_kind:     global_buffer
      - .address_space:  global
        .offset:         8
        .size:           8
        .value_kind:     global_buffer
      - .address_space:  global
        .offset:         16
        .size:           8
        .value_kind:     global_buffer
      - .offset:         24
        .size:           4
        .value_kind:     by_value
      - .offset:         28
        .size:           4
        .value_kind:     by_value
      - .offset:         32
        .size:           4
        .value_kind:     by_value
      - .offset:         36
        .size:           12
        .value_kind:     by_value
      - .offset:         48
        .size:           12
        .value_kind:     by_value
      - .offset:         60
        .size:           12
        .value_kind:     by_value
      - .offset:         72
        .size:           12
        .value_kind:     by_value
      - .offset:         84
        .size:           12
        .value_kind:     by_value
      - .offset:         96
        .size:           4
        .value_kind:     by_value
      - .offset:         100
        .size:           4
        .value_kind:     by_value
      - .offset:         104
        .size:           4
        .value_kind:     by_value
      - .offset:         108
        .size:           4
        .value_kind:     by_value
      - .offset:         112
        .size:           4
        .value_kind:     by_value
      - .offset:         116
        .size:           4
        .value_kind:     by_value
      - .offset:         120
        .size:           4
        .value_kind:     by_value
      - .offset:         124
        .size:           4
        .value_kind:     by_value
      - .offset:         128
        .size:           4
        .value_kind:     by_value
      - .offset:         132
        .size:           4
        .value_kind:     by_value
      - .offset:         136
        .size:           4
        .value_kind:     by_value
      - .address_space:  global
        .offset:         144
        .size:           8
        .value_kind:     global_buffer
      - .offset:         152
        .size:           4
        .value_kind:     hidden_block_count_x
      - .offset:         156
        .size:           4
        .value_kind:     hidden_block_count_y
      - .offset:         160
        .size:           4
        .value_kind:     hidden_block_count_z
      - .offset:         164
        .size:           2
        .value_kind:     hidden_group_size_x
      - .offset:         166
        .size:           2
        .value_kind:     hidden_group_size_y
      - .offset:         168
        .size:           2
        .value_kind:     hidden_group_size_z
      - .offset:         170
        .size:           2
        .value_kind:     hidden_remainder_x
      - .offset:         172
        .size:           2
        .value_kind:     hidden_remainder_y
      - .offset:         174
        .size:           2
        .value_kind:     hidden_remainder_z
      - .offset:         192
        .size:           8
        .value_kind:     hidden_global_offset_x
      - .offset:         200
        .size:           8
        .value_kind:     hidden_global_offset_y
      - .offset:         208
        .size:           8
        .value_kind:     hidden_global_offset_z
      - .offset:         216
        .size:           2
        .value_kind:     hidden_grid_dims
    .group_segment_fixed_size: 0
    .kernarg_segment_align: 8
    .kernarg_segment_size: 408
    .language:       OpenCL C
    .language_version:
      - 2
      - 0
    .max_flat_workgroup_size: 1024
    .name:           _ZL11k_bin_bcastIXadL_ZL6op_subffEE6__halffS0_JPKfEEvPKT0_PKT1_PT2_iii15HIP_vector_typeIjLj3EESC_SC_SC_SC_iiiiiiiiiiiDpT3_
    .private_segment_fixed_size: 0
    .sgpr_count:     46
    .sgpr_spill_count: 0
    .symbol:         _ZL11k_bin_bcastIXadL_ZL6op_subffEE6__halffS0_JPKfEEvPKT0_PKT1_PT2_iii15HIP_vector_typeIjLj3EESC_SC_SC_SC_iiiiiiiiiiiDpT3_.kd
    .uniform_work_group_size: 1
    .uses_dynamic_stack: false
    .vgpr_count:     15
    .vgpr_spill_count: 0
    .wavefront_size: 32
    .workgroup_processor_mode: 1
  - .args:
      - .address_space:  global
        .offset:         0
        .size:           8
        .value_kind:     global_buffer
      - .address_space:  global
        .offset:         8
        .size:           8
        .value_kind:     global_buffer
      - .address_space:  global
        .offset:         16
        .size:           8
        .value_kind:     global_buffer
      - .offset:         24
        .size:           12
        .value_kind:     by_value
      - .offset:         36
        .size:           12
        .value_kind:     by_value
      - .offset:         48
        .size:           12
        .value_kind:     by_value
      - .offset:         60
        .size:           4
        .value_kind:     by_value
      - .offset:         64
        .size:           12
        .value_kind:     by_value
      - .offset:         76
        .size:           12
        .value_kind:     by_value
      - .offset:         88
        .size:           12
        .value_kind:     by_value
      - .offset:         100
        .size:           12
        .value_kind:     by_value
      - .offset:         112
        .size:           12
        .value_kind:     by_value
      - .offset:         124
        .size:           12
        .value_kind:     by_value
      - .offset:         136
        .size:           4
        .value_kind:     by_value
      - .offset:         140
        .size:           4
        .value_kind:     by_value
      - .offset:         144
        .size:           4
        .value_kind:     by_value
      - .offset:         148
        .size:           4
        .value_kind:     by_value
      - .offset:         152
        .size:           4
        .value_kind:     by_value
      - .offset:         156
        .size:           4
        .value_kind:     by_value
      - .offset:         160
        .size:           4
        .value_kind:     by_value
      - .offset:         164
        .size:           4
        .value_kind:     by_value
      - .offset:         168
        .size:           4
        .value_kind:     by_value
      - .offset:         172
        .size:           4
        .value_kind:     by_value
      - .offset:         176
        .size:           4
        .value_kind:     by_value
      - .address_space:  global
        .offset:         184
        .size:           8
        .value_kind:     global_buffer
      - .offset:         192
        .size:           4
        .value_kind:     hidden_block_count_x
      - .offset:         196
        .size:           4
        .value_kind:     hidden_block_count_y
      - .offset:         200
        .size:           4
        .value_kind:     hidden_block_count_z
      - .offset:         204
        .size:           2
        .value_kind:     hidden_group_size_x
      - .offset:         206
        .size:           2
        .value_kind:     hidden_group_size_y
      - .offset:         208
        .size:           2
        .value_kind:     hidden_group_size_z
      - .offset:         210
        .size:           2
        .value_kind:     hidden_remainder_x
      - .offset:         212
        .size:           2
        .value_kind:     hidden_remainder_y
      - .offset:         214
        .size:           2
        .value_kind:     hidden_remainder_z
      - .offset:         232
        .size:           8
        .value_kind:     hidden_global_offset_x
      - .offset:         240
        .size:           8
        .value_kind:     hidden_global_offset_y
      - .offset:         248
        .size:           8
        .value_kind:     hidden_global_offset_z
      - .offset:         256
        .size:           2
        .value_kind:     hidden_grid_dims
    .group_segment_fixed_size: 0
    .kernarg_segment_align: 8
    .kernarg_segment_size: 448
    .language:       OpenCL C
    .language_version:
      - 2
      - 0
    .max_flat_workgroup_size: 1024
    .name:           _ZL19k_bin_bcast_unravelIXadL_ZL6op_subffEE6__halfffJPKfEEvPKT0_PKT1_PT2_15HIP_vector_typeIjLj3EESC_SC_jSC_SC_SC_SC_SC_SC_iiiiiiiiiiiDpT3_
    .private_segment_fixed_size: 0
    .sgpr_count:     30
    .sgpr_spill_count: 0
    .symbol:         _ZL19k_bin_bcast_unravelIXadL_ZL6op_subffEE6__halfffJPKfEEvPKT0_PKT1_PT2_15HIP_vector_typeIjLj3EESC_SC_jSC_SC_SC_SC_SC_SC_iiiiiiiiiiiDpT3_.kd
    .uniform_work_group_size: 1
    .uses_dynamic_stack: false
    .vgpr_count:     9
    .vgpr_spill_count: 0
    .wavefront_size: 32
    .workgroup_processor_mode: 1
  - .args:
      - .address_space:  global
        .offset:         0
        .size:           8
        .value_kind:     global_buffer
      - .address_space:  global
        .offset:         8
        .size:           8
        .value_kind:     global_buffer
      - .address_space:  global
        .offset:         16
        .size:           8
        .value_kind:     global_buffer
      - .offset:         24
        .size:           4
        .value_kind:     by_value
      - .offset:         28
        .size:           4
        .value_kind:     by_value
      - .offset:         32
        .size:           4
        .value_kind:     by_value
      - .offset:         36
        .size:           12
        .value_kind:     by_value
      - .offset:         48
        .size:           12
        .value_kind:     by_value
      - .offset:         60
        .size:           12
        .value_kind:     by_value
      - .offset:         72
        .size:           12
        .value_kind:     by_value
      - .offset:         84
        .size:           12
        .value_kind:     by_value
      - .offset:         96
        .size:           4
        .value_kind:     by_value
      - .offset:         100
        .size:           4
        .value_kind:     by_value
      - .offset:         104
        .size:           4
        .value_kind:     by_value
      - .offset:         108
        .size:           4
        .value_kind:     by_value
      - .offset:         112
        .size:           4
        .value_kind:     by_value
      - .offset:         116
        .size:           4
        .value_kind:     by_value
      - .offset:         120
        .size:           4
        .value_kind:     by_value
      - .offset:         124
        .size:           4
        .value_kind:     by_value
      - .offset:         128
        .size:           4
        .value_kind:     by_value
      - .offset:         132
        .size:           4
        .value_kind:     by_value
      - .offset:         136
        .size:           4
        .value_kind:     by_value
      - .address_space:  global
        .offset:         144
        .size:           8
        .value_kind:     global_buffer
      - .offset:         152
        .size:           4
        .value_kind:     hidden_block_count_x
      - .offset:         156
        .size:           4
        .value_kind:     hidden_block_count_y
      - .offset:         160
        .size:           4
        .value_kind:     hidden_block_count_z
      - .offset:         164
        .size:           2
        .value_kind:     hidden_group_size_x
      - .offset:         166
        .size:           2
        .value_kind:     hidden_group_size_y
      - .offset:         168
        .size:           2
        .value_kind:     hidden_group_size_z
      - .offset:         170
        .size:           2
        .value_kind:     hidden_remainder_x
      - .offset:         172
        .size:           2
        .value_kind:     hidden_remainder_y
      - .offset:         174
        .size:           2
        .value_kind:     hidden_remainder_z
      - .offset:         192
        .size:           8
        .value_kind:     hidden_global_offset_x
      - .offset:         200
        .size:           8
        .value_kind:     hidden_global_offset_y
      - .offset:         208
        .size:           8
        .value_kind:     hidden_global_offset_z
      - .offset:         216
        .size:           2
        .value_kind:     hidden_grid_dims
    .group_segment_fixed_size: 0
    .kernarg_segment_align: 8
    .kernarg_segment_size: 408
    .language:       OpenCL C
    .language_version:
      - 2
      - 0
    .max_flat_workgroup_size: 1024
    .name:           _ZL11k_bin_bcastIXadL_ZL6op_subffEE6__halfffJPKfEEvPKT0_PKT1_PT2_iii15HIP_vector_typeIjLj3EESC_SC_SC_SC_iiiiiiiiiiiDpT3_
    .private_segment_fixed_size: 0
    .sgpr_count:     46
    .sgpr_spill_count: 0
    .symbol:         _ZL11k_bin_bcastIXadL_ZL6op_subffEE6__halfffJPKfEEvPKT0_PKT1_PT2_iii15HIP_vector_typeIjLj3EESC_SC_SC_SC_iiiiiiiiiiiDpT3_.kd
    .uniform_work_group_size: 1
    .uses_dynamic_stack: false
    .vgpr_count:     15
    .vgpr_spill_count: 0
    .wavefront_size: 32
    .workgroup_processor_mode: 1
  - .args:
      - .address_space:  global
        .offset:         0
        .size:           8
        .value_kind:     global_buffer
      - .address_space:  global
        .offset:         8
        .size:           8
        .value_kind:     global_buffer
      - .address_space:  global
        .offset:         16
        .size:           8
        .value_kind:     global_buffer
      - .offset:         24
        .size:           12
        .value_kind:     by_value
      - .offset:         36
        .size:           12
        .value_kind:     by_value
      - .offset:         48
        .size:           12
        .value_kind:     by_value
      - .offset:         60
        .size:           4
        .value_kind:     by_value
      - .offset:         64
        .size:           12
        .value_kind:     by_value
      - .offset:         76
        .size:           12
        .value_kind:     by_value
      - .offset:         88
        .size:           12
        .value_kind:     by_value
      - .offset:         100
        .size:           12
        .value_kind:     by_value
      - .offset:         112
        .size:           12
        .value_kind:     by_value
      - .offset:         124
        .size:           12
        .value_kind:     by_value
      - .offset:         136
        .size:           4
        .value_kind:     by_value
      - .offset:         140
        .size:           4
        .value_kind:     by_value
      - .offset:         144
        .size:           4
        .value_kind:     by_value
      - .offset:         148
        .size:           4
        .value_kind:     by_value
      - .offset:         152
        .size:           4
        .value_kind:     by_value
      - .offset:         156
        .size:           4
        .value_kind:     by_value
      - .offset:         160
        .size:           4
        .value_kind:     by_value
      - .offset:         164
        .size:           4
        .value_kind:     by_value
      - .offset:         168
        .size:           4
        .value_kind:     by_value
      - .offset:         172
        .size:           4
        .value_kind:     by_value
      - .offset:         176
        .size:           4
        .value_kind:     by_value
      - .address_space:  global
        .offset:         184
        .size:           8
        .value_kind:     global_buffer
      - .offset:         192
        .size:           4
        .value_kind:     hidden_block_count_x
      - .offset:         196
        .size:           4
        .value_kind:     hidden_block_count_y
      - .offset:         200
        .size:           4
        .value_kind:     hidden_block_count_z
      - .offset:         204
        .size:           2
        .value_kind:     hidden_group_size_x
      - .offset:         206
        .size:           2
        .value_kind:     hidden_group_size_y
      - .offset:         208
        .size:           2
        .value_kind:     hidden_group_size_z
      - .offset:         210
        .size:           2
        .value_kind:     hidden_remainder_x
      - .offset:         212
        .size:           2
        .value_kind:     hidden_remainder_y
      - .offset:         214
        .size:           2
        .value_kind:     hidden_remainder_z
      - .offset:         232
        .size:           8
        .value_kind:     hidden_global_offset_x
      - .offset:         240
        .size:           8
        .value_kind:     hidden_global_offset_y
      - .offset:         248
        .size:           8
        .value_kind:     hidden_global_offset_z
      - .offset:         256
        .size:           2
        .value_kind:     hidden_grid_dims
    .group_segment_fixed_size: 0
    .kernarg_segment_align: 8
    .kernarg_segment_size: 448
    .language:       OpenCL C
    .language_version:
      - 2
      - 0
    .max_flat_workgroup_size: 1024
    .name:           _ZL19k_bin_bcast_unravelIXadL_ZL6op_mulffEEfffJPKfEEvPKT0_PKT1_PT2_15HIP_vector_typeIjLj3EESB_SB_jSB_SB_SB_SB_SB_SB_iiiiiiiiiiiDpT3_
    .private_segment_fixed_size: 0
    .sgpr_count:     30
    .sgpr_spill_count: 0
    .symbol:         _ZL19k_bin_bcast_unravelIXadL_ZL6op_mulffEEfffJPKfEEvPKT0_PKT1_PT2_15HIP_vector_typeIjLj3EESB_SB_jSB_SB_SB_SB_SB_SB_iiiiiiiiiiiDpT3_.kd
    .uniform_work_group_size: 1
    .uses_dynamic_stack: false
    .vgpr_count:     9
    .vgpr_spill_count: 0
    .wavefront_size: 32
    .workgroup_processor_mode: 1
  - .args:
      - .address_space:  global
        .offset:         0
        .size:           8
        .value_kind:     global_buffer
      - .address_space:  global
        .offset:         8
        .size:           8
        .value_kind:     global_buffer
      - .address_space:  global
        .offset:         16
        .size:           8
        .value_kind:     global_buffer
      - .offset:         24
        .size:           4
        .value_kind:     by_value
      - .offset:         28
        .size:           4
        .value_kind:     by_value
      - .offset:         32
        .size:           4
        .value_kind:     by_value
      - .offset:         36
        .size:           12
        .value_kind:     by_value
      - .offset:         48
        .size:           12
        .value_kind:     by_value
      - .offset:         60
        .size:           12
        .value_kind:     by_value
      - .offset:         72
        .size:           12
        .value_kind:     by_value
      - .offset:         84
        .size:           12
        .value_kind:     by_value
      - .offset:         96
        .size:           4
        .value_kind:     by_value
      - .offset:         100
        .size:           4
        .value_kind:     by_value
      - .offset:         104
        .size:           4
        .value_kind:     by_value
      - .offset:         108
        .size:           4
        .value_kind:     by_value
      - .offset:         112
        .size:           4
        .value_kind:     by_value
      - .offset:         116
        .size:           4
        .value_kind:     by_value
      - .offset:         120
        .size:           4
        .value_kind:     by_value
      - .offset:         124
        .size:           4
        .value_kind:     by_value
      - .offset:         128
        .size:           4
        .value_kind:     by_value
      - .offset:         132
        .size:           4
        .value_kind:     by_value
      - .offset:         136
        .size:           4
        .value_kind:     by_value
      - .address_space:  global
        .offset:         144
        .size:           8
        .value_kind:     global_buffer
      - .offset:         152
        .size:           4
        .value_kind:     hidden_block_count_x
      - .offset:         156
        .size:           4
        .value_kind:     hidden_block_count_y
      - .offset:         160
        .size:           4
        .value_kind:     hidden_block_count_z
      - .offset:         164
        .size:           2
        .value_kind:     hidden_group_size_x
      - .offset:         166
        .size:           2
        .value_kind:     hidden_group_size_y
      - .offset:         168
        .size:           2
        .value_kind:     hidden_group_size_z
      - .offset:         170
        .size:           2
        .value_kind:     hidden_remainder_x
      - .offset:         172
        .size:           2
        .value_kind:     hidden_remainder_y
      - .offset:         174
        .size:           2
        .value_kind:     hidden_remainder_z
      - .offset:         192
        .size:           8
        .value_kind:     hidden_global_offset_x
      - .offset:         200
        .size:           8
        .value_kind:     hidden_global_offset_y
      - .offset:         208
        .size:           8
        .value_kind:     hidden_global_offset_z
      - .offset:         216
        .size:           2
        .value_kind:     hidden_grid_dims
    .group_segment_fixed_size: 0
    .kernarg_segment_align: 8
    .kernarg_segment_size: 408
    .language:       OpenCL C
    .language_version:
      - 2
      - 0
    .max_flat_workgroup_size: 1024
    .name:           _ZL11k_bin_bcastIXadL_ZL6op_mulffEEfffJPKfEEvPKT0_PKT1_PT2_iii15HIP_vector_typeIjLj3EESB_SB_SB_SB_iiiiiiiiiiiDpT3_
    .private_segment_fixed_size: 0
    .sgpr_count:     46
    .sgpr_spill_count: 0
    .symbol:         _ZL11k_bin_bcastIXadL_ZL6op_mulffEEfffJPKfEEvPKT0_PKT1_PT2_iii15HIP_vector_typeIjLj3EESB_SB_SB_SB_iiiiiiiiiiiDpT3_.kd
    .uniform_work_group_size: 1
    .uses_dynamic_stack: false
    .vgpr_count:     15
    .vgpr_spill_count: 0
    .wavefront_size: 32
    .workgroup_processor_mode: 1
  - .args:
      - .address_space:  global
        .offset:         0
        .size:           8
        .value_kind:     global_buffer
      - .address_space:  global
        .offset:         8
        .size:           8
        .value_kind:     global_buffer
      - .address_space:  global
        .offset:         16
        .size:           8
        .value_kind:     global_buffer
      - .offset:         24
        .size:           12
        .value_kind:     by_value
      - .offset:         36
        .size:           12
        .value_kind:     by_value
      - .offset:         48
        .size:           12
        .value_kind:     by_value
      - .offset:         60
        .size:           4
        .value_kind:     by_value
      - .offset:         64
        .size:           12
        .value_kind:     by_value
      - .offset:         76
        .size:           12
        .value_kind:     by_value
      - .offset:         88
        .size:           12
        .value_kind:     by_value
      - .offset:         100
        .size:           12
        .value_kind:     by_value
      - .offset:         112
        .size:           12
        .value_kind:     by_value
      - .offset:         124
        .size:           12
        .value_kind:     by_value
      - .offset:         136
        .size:           4
        .value_kind:     by_value
      - .offset:         140
        .size:           4
        .value_kind:     by_value
      - .offset:         144
        .size:           4
        .value_kind:     by_value
      - .offset:         148
        .size:           4
        .value_kind:     by_value
      - .offset:         152
        .size:           4
        .value_kind:     by_value
      - .offset:         156
        .size:           4
        .value_kind:     by_value
      - .offset:         160
        .size:           4
        .value_kind:     by_value
      - .offset:         164
        .size:           4
        .value_kind:     by_value
      - .offset:         168
        .size:           4
        .value_kind:     by_value
      - .offset:         172
        .size:           4
        .value_kind:     by_value
      - .offset:         176
        .size:           4
        .value_kind:     by_value
      - .address_space:  global
        .offset:         184
        .size:           8
        .value_kind:     global_buffer
      - .offset:         192
        .size:           4
        .value_kind:     hidden_block_count_x
      - .offset:         196
        .size:           4
        .value_kind:     hidden_block_count_y
      - .offset:         200
        .size:           4
        .value_kind:     hidden_block_count_z
      - .offset:         204
        .size:           2
        .value_kind:     hidden_group_size_x
      - .offset:         206
        .size:           2
        .value_kind:     hidden_group_size_y
      - .offset:         208
        .size:           2
        .value_kind:     hidden_group_size_z
      - .offset:         210
        .size:           2
        .value_kind:     hidden_remainder_x
      - .offset:         212
        .size:           2
        .value_kind:     hidden_remainder_y
      - .offset:         214
        .size:           2
        .value_kind:     hidden_remainder_z
      - .offset:         232
        .size:           8
        .value_kind:     hidden_global_offset_x
      - .offset:         240
        .size:           8
        .value_kind:     hidden_global_offset_y
      - .offset:         248
        .size:           8
        .value_kind:     hidden_global_offset_z
      - .offset:         256
        .size:           2
        .value_kind:     hidden_grid_dims
    .group_segment_fixed_size: 0
    .kernarg_segment_align: 8
    .kernarg_segment_size: 448
    .language:       OpenCL C
    .language_version:
      - 2
      - 0
    .max_flat_workgroup_size: 1024
    .name:           _ZL19k_bin_bcast_unravelIXadL_ZL6op_mulffEE6__halfS0_S0_JPKS0_EEvPKT0_PKT1_PT2_15HIP_vector_typeIjLj3EESC_SC_jSC_SC_SC_SC_SC_SC_iiiiiiiiiiiDpT3_
    .private_segment_fixed_size: 0
    .sgpr_count:     30
    .sgpr_spill_count: 0
    .symbol:         _ZL19k_bin_bcast_unravelIXadL_ZL6op_mulffEE6__halfS0_S0_JPKS0_EEvPKT0_PKT1_PT2_15HIP_vector_typeIjLj3EESC_SC_jSC_SC_SC_SC_SC_SC_iiiiiiiiiiiDpT3_.kd
    .uniform_work_group_size: 1
    .uses_dynamic_stack: false
    .vgpr_count:     9
    .vgpr_spill_count: 0
    .wavefront_size: 32
    .workgroup_processor_mode: 1
  - .args:
      - .address_space:  global
        .offset:         0
        .size:           8
        .value_kind:     global_buffer
      - .address_space:  global
        .offset:         8
        .size:           8
        .value_kind:     global_buffer
      - .address_space:  global
        .offset:         16
        .size:           8
        .value_kind:     global_buffer
      - .offset:         24
        .size:           4
        .value_kind:     by_value
      - .offset:         28
        .size:           4
        .value_kind:     by_value
      - .offset:         32
        .size:           4
        .value_kind:     by_value
      - .offset:         36
        .size:           12
        .value_kind:     by_value
      - .offset:         48
        .size:           12
        .value_kind:     by_value
      - .offset:         60
        .size:           12
        .value_kind:     by_value
      - .offset:         72
        .size:           12
        .value_kind:     by_value
      - .offset:         84
        .size:           12
        .value_kind:     by_value
      - .offset:         96
        .size:           4
        .value_kind:     by_value
      - .offset:         100
        .size:           4
        .value_kind:     by_value
      - .offset:         104
        .size:           4
        .value_kind:     by_value
      - .offset:         108
        .size:           4
        .value_kind:     by_value
      - .offset:         112
        .size:           4
        .value_kind:     by_value
      - .offset:         116
        .size:           4
        .value_kind:     by_value
      - .offset:         120
        .size:           4
        .value_kind:     by_value
      - .offset:         124
        .size:           4
        .value_kind:     by_value
      - .offset:         128
        .size:           4
        .value_kind:     by_value
      - .offset:         132
        .size:           4
        .value_kind:     by_value
      - .offset:         136
        .size:           4
        .value_kind:     by_value
      - .address_space:  global
        .offset:         144
        .size:           8
        .value_kind:     global_buffer
      - .offset:         152
        .size:           4
        .value_kind:     hidden_block_count_x
      - .offset:         156
        .size:           4
        .value_kind:     hidden_block_count_y
      - .offset:         160
        .size:           4
        .value_kind:     hidden_block_count_z
      - .offset:         164
        .size:           2
        .value_kind:     hidden_group_size_x
      - .offset:         166
        .size:           2
        .value_kind:     hidden_group_size_y
      - .offset:         168
        .size:           2
        .value_kind:     hidden_group_size_z
      - .offset:         170
        .size:           2
        .value_kind:     hidden_remainder_x
      - .offset:         172
        .size:           2
        .value_kind:     hidden_remainder_y
      - .offset:         174
        .size:           2
        .value_kind:     hidden_remainder_z
      - .offset:         192
        .size:           8
        .value_kind:     hidden_global_offset_x
      - .offset:         200
        .size:           8
        .value_kind:     hidden_global_offset_y
      - .offset:         208
        .size:           8
        .value_kind:     hidden_global_offset_z
      - .offset:         216
        .size:           2
        .value_kind:     hidden_grid_dims
    .group_segment_fixed_size: 0
    .kernarg_segment_align: 8
    .kernarg_segment_size: 408
    .language:       OpenCL C
    .language_version:
      - 2
      - 0
    .max_flat_workgroup_size: 1024
    .name:           _ZL11k_bin_bcastIXadL_ZL6op_mulffEE6__halfS0_S0_JPKS0_EEvPKT0_PKT1_PT2_iii15HIP_vector_typeIjLj3EESC_SC_SC_SC_iiiiiiiiiiiDpT3_
    .private_segment_fixed_size: 0
    .sgpr_count:     46
    .sgpr_spill_count: 0
    .symbol:         _ZL11k_bin_bcastIXadL_ZL6op_mulffEE6__halfS0_S0_JPKS0_EEvPKT0_PKT1_PT2_iii15HIP_vector_typeIjLj3EESC_SC_SC_SC_iiiiiiiiiiiDpT3_.kd
    .uniform_work_group_size: 1
    .uses_dynamic_stack: false
    .vgpr_count:     15
    .vgpr_spill_count: 0
    .wavefront_size: 32
    .workgroup_processor_mode: 1
  - .args:
      - .address_space:  global
        .offset:         0
        .size:           8
        .value_kind:     global_buffer
      - .address_space:  global
        .offset:         8
        .size:           8
        .value_kind:     global_buffer
      - .address_space:  global
        .offset:         16
        .size:           8
        .value_kind:     global_buffer
      - .offset:         24
        .size:           12
        .value_kind:     by_value
      - .offset:         36
        .size:           12
        .value_kind:     by_value
      - .offset:         48
        .size:           12
        .value_kind:     by_value
      - .offset:         60
        .size:           4
        .value_kind:     by_value
      - .offset:         64
        .size:           12
        .value_kind:     by_value
      - .offset:         76
        .size:           12
        .value_kind:     by_value
      - .offset:         88
        .size:           12
        .value_kind:     by_value
      - .offset:         100
        .size:           12
        .value_kind:     by_value
      - .offset:         112
        .size:           12
        .value_kind:     by_value
      - .offset:         124
        .size:           12
        .value_kind:     by_value
      - .offset:         136
        .size:           4
        .value_kind:     by_value
      - .offset:         140
        .size:           4
        .value_kind:     by_value
      - .offset:         144
        .size:           4
        .value_kind:     by_value
      - .offset:         148
        .size:           4
        .value_kind:     by_value
      - .offset:         152
        .size:           4
        .value_kind:     by_value
      - .offset:         156
        .size:           4
        .value_kind:     by_value
      - .offset:         160
        .size:           4
        .value_kind:     by_value
      - .offset:         164
        .size:           4
        .value_kind:     by_value
      - .offset:         168
        .size:           4
        .value_kind:     by_value
      - .offset:         172
        .size:           4
        .value_kind:     by_value
      - .offset:         176
        .size:           4
        .value_kind:     by_value
      - .address_space:  global
        .offset:         184
        .size:           8
        .value_kind:     global_buffer
      - .offset:         192
        .size:           4
        .value_kind:     hidden_block_count_x
      - .offset:         196
        .size:           4
        .value_kind:     hidden_block_count_y
      - .offset:         200
        .size:           4
        .value_kind:     hidden_block_count_z
      - .offset:         204
        .size:           2
        .value_kind:     hidden_group_size_x
      - .offset:         206
        .size:           2
        .value_kind:     hidden_group_size_y
      - .offset:         208
        .size:           2
        .value_kind:     hidden_group_size_z
      - .offset:         210
        .size:           2
        .value_kind:     hidden_remainder_x
      - .offset:         212
        .size:           2
        .value_kind:     hidden_remainder_y
      - .offset:         214
        .size:           2
        .value_kind:     hidden_remainder_z
      - .offset:         232
        .size:           8
        .value_kind:     hidden_global_offset_x
      - .offset:         240
        .size:           8
        .value_kind:     hidden_global_offset_y
      - .offset:         248
        .size:           8
        .value_kind:     hidden_global_offset_z
      - .offset:         256
        .size:           2
        .value_kind:     hidden_grid_dims
    .group_segment_fixed_size: 0
    .kernarg_segment_align: 8
    .kernarg_segment_size: 448
    .language:       OpenCL C
    .language_version:
      - 2
      - 0
    .max_flat_workgroup_size: 1024
    .name:           _ZL19k_bin_bcast_unravelIXadL_ZL6op_mulffEE6__halffS0_JPKfEEvPKT0_PKT1_PT2_15HIP_vector_typeIjLj3EESC_SC_jSC_SC_SC_SC_SC_SC_iiiiiiiiiiiDpT3_
    .private_segment_fixed_size: 0
    .sgpr_count:     30
    .sgpr_spill_count: 0
    .symbol:         _ZL19k_bin_bcast_unravelIXadL_ZL6op_mulffEE6__halffS0_JPKfEEvPKT0_PKT1_PT2_15HIP_vector_typeIjLj3EESC_SC_jSC_SC_SC_SC_SC_SC_iiiiiiiiiiiDpT3_.kd
    .uniform_work_group_size: 1
    .uses_dynamic_stack: false
    .vgpr_count:     9
    .vgpr_spill_count: 0
    .wavefront_size: 32
    .workgroup_processor_mode: 1
  - .args:
      - .address_space:  global
        .offset:         0
        .size:           8
        .value_kind:     global_buffer
      - .address_space:  global
        .offset:         8
        .size:           8
        .value_kind:     global_buffer
      - .address_space:  global
        .offset:         16
        .size:           8
        .value_kind:     global_buffer
      - .offset:         24
        .size:           4
        .value_kind:     by_value
      - .offset:         28
        .size:           4
        .value_kind:     by_value
      - .offset:         32
        .size:           4
        .value_kind:     by_value
      - .offset:         36
        .size:           12
        .value_kind:     by_value
      - .offset:         48
        .size:           12
        .value_kind:     by_value
      - .offset:         60
        .size:           12
        .value_kind:     by_value
      - .offset:         72
        .size:           12
        .value_kind:     by_value
      - .offset:         84
        .size:           12
        .value_kind:     by_value
      - .offset:         96
        .size:           4
        .value_kind:     by_value
      - .offset:         100
        .size:           4
        .value_kind:     by_value
      - .offset:         104
        .size:           4
        .value_kind:     by_value
      - .offset:         108
        .size:           4
        .value_kind:     by_value
      - .offset:         112
        .size:           4
        .value_kind:     by_value
      - .offset:         116
        .size:           4
        .value_kind:     by_value
      - .offset:         120
        .size:           4
        .value_kind:     by_value
      - .offset:         124
        .size:           4
        .value_kind:     by_value
      - .offset:         128
        .size:           4
        .value_kind:     by_value
      - .offset:         132
        .size:           4
        .value_kind:     by_value
      - .offset:         136
        .size:           4
        .value_kind:     by_value
      - .address_space:  global
        .offset:         144
        .size:           8
        .value_kind:     global_buffer
      - .offset:         152
        .size:           4
        .value_kind:     hidden_block_count_x
      - .offset:         156
        .size:           4
        .value_kind:     hidden_block_count_y
      - .offset:         160
        .size:           4
        .value_kind:     hidden_block_count_z
      - .offset:         164
        .size:           2
        .value_kind:     hidden_group_size_x
      - .offset:         166
        .size:           2
        .value_kind:     hidden_group_size_y
      - .offset:         168
        .size:           2
        .value_kind:     hidden_group_size_z
      - .offset:         170
        .size:           2
        .value_kind:     hidden_remainder_x
      - .offset:         172
        .size:           2
        .value_kind:     hidden_remainder_y
      - .offset:         174
        .size:           2
        .value_kind:     hidden_remainder_z
      - .offset:         192
        .size:           8
        .value_kind:     hidden_global_offset_x
      - .offset:         200
        .size:           8
        .value_kind:     hidden_global_offset_y
      - .offset:         208
        .size:           8
        .value_kind:     hidden_global_offset_z
      - .offset:         216
        .size:           2
        .value_kind:     hidden_grid_dims
    .group_segment_fixed_size: 0
    .kernarg_segment_align: 8
    .kernarg_segment_size: 408
    .language:       OpenCL C
    .language_version:
      - 2
      - 0
    .max_flat_workgroup_size: 1024
    .name:           _ZL11k_bin_bcastIXadL_ZL6op_mulffEE6__halffS0_JPKfEEvPKT0_PKT1_PT2_iii15HIP_vector_typeIjLj3EESC_SC_SC_SC_iiiiiiiiiiiDpT3_
    .private_segment_fixed_size: 0
    .sgpr_count:     46
    .sgpr_spill_count: 0
    .symbol:         _ZL11k_bin_bcastIXadL_ZL6op_mulffEE6__halffS0_JPKfEEvPKT0_PKT1_PT2_iii15HIP_vector_typeIjLj3EESC_SC_SC_SC_iiiiiiiiiiiDpT3_.kd
    .uniform_work_group_size: 1
    .uses_dynamic_stack: false
    .vgpr_count:     15
    .vgpr_spill_count: 0
    .wavefront_size: 32
    .workgroup_processor_mode: 1
  - .args:
      - .address_space:  global
        .offset:         0
        .size:           8
        .value_kind:     global_buffer
      - .address_space:  global
        .offset:         8
        .size:           8
        .value_kind:     global_buffer
      - .address_space:  global
        .offset:         16
        .size:           8
        .value_kind:     global_buffer
      - .offset:         24
        .size:           12
        .value_kind:     by_value
      - .offset:         36
        .size:           12
        .value_kind:     by_value
      - .offset:         48
        .size:           12
        .value_kind:     by_value
      - .offset:         60
        .size:           4
        .value_kind:     by_value
      - .offset:         64
        .size:           12
        .value_kind:     by_value
      - .offset:         76
        .size:           12
        .value_kind:     by_value
      - .offset:         88
        .size:           12
        .value_kind:     by_value
      - .offset:         100
        .size:           12
        .value_kind:     by_value
      - .offset:         112
        .size:           12
        .value_kind:     by_value
      - .offset:         124
        .size:           12
        .value_kind:     by_value
      - .offset:         136
        .size:           4
        .value_kind:     by_value
      - .offset:         140
        .size:           4
        .value_kind:     by_value
      - .offset:         144
        .size:           4
        .value_kind:     by_value
      - .offset:         148
        .size:           4
        .value_kind:     by_value
      - .offset:         152
        .size:           4
        .value_kind:     by_value
      - .offset:         156
        .size:           4
        .value_kind:     by_value
      - .offset:         160
        .size:           4
        .value_kind:     by_value
      - .offset:         164
        .size:           4
        .value_kind:     by_value
      - .offset:         168
        .size:           4
        .value_kind:     by_value
      - .offset:         172
        .size:           4
        .value_kind:     by_value
      - .offset:         176
        .size:           4
        .value_kind:     by_value
      - .address_space:  global
        .offset:         184
        .size:           8
        .value_kind:     global_buffer
      - .offset:         192
        .size:           4
        .value_kind:     hidden_block_count_x
      - .offset:         196
        .size:           4
        .value_kind:     hidden_block_count_y
      - .offset:         200
        .size:           4
        .value_kind:     hidden_block_count_z
      - .offset:         204
        .size:           2
        .value_kind:     hidden_group_size_x
      - .offset:         206
        .size:           2
        .value_kind:     hidden_group_size_y
      - .offset:         208
        .size:           2
        .value_kind:     hidden_group_size_z
      - .offset:         210
        .size:           2
        .value_kind:     hidden_remainder_x
      - .offset:         212
        .size:           2
        .value_kind:     hidden_remainder_y
      - .offset:         214
        .size:           2
        .value_kind:     hidden_remainder_z
      - .offset:         232
        .size:           8
        .value_kind:     hidden_global_offset_x
      - .offset:         240
        .size:           8
        .value_kind:     hidden_global_offset_y
      - .offset:         248
        .size:           8
        .value_kind:     hidden_global_offset_z
      - .offset:         256
        .size:           2
        .value_kind:     hidden_grid_dims
    .group_segment_fixed_size: 0
    .kernarg_segment_align: 8
    .kernarg_segment_size: 448
    .language:       OpenCL C
    .language_version:
      - 2
      - 0
    .max_flat_workgroup_size: 1024
    .name:           _ZL19k_bin_bcast_unravelIXadL_ZL6op_mulffEE6__halfffJPKfEEvPKT0_PKT1_PT2_15HIP_vector_typeIjLj3EESC_SC_jSC_SC_SC_SC_SC_SC_iiiiiiiiiiiDpT3_
    .private_segment_fixed_size: 0
    .sgpr_count:     30
    .sgpr_spill_count: 0
    .symbol:         _ZL19k_bin_bcast_unravelIXadL_ZL6op_mulffEE6__halfffJPKfEEvPKT0_PKT1_PT2_15HIP_vector_typeIjLj3EESC_SC_jSC_SC_SC_SC_SC_SC_iiiiiiiiiiiDpT3_.kd
    .uniform_work_group_size: 1
    .uses_dynamic_stack: false
    .vgpr_count:     9
    .vgpr_spill_count: 0
    .wavefront_size: 32
    .workgroup_processor_mode: 1
  - .args:
      - .address_space:  global
        .offset:         0
        .size:           8
        .value_kind:     global_buffer
      - .address_space:  global
        .offset:         8
        .size:           8
        .value_kind:     global_buffer
      - .address_space:  global
        .offset:         16
        .size:           8
        .value_kind:     global_buffer
      - .offset:         24
        .size:           4
        .value_kind:     by_value
      - .offset:         28
        .size:           4
        .value_kind:     by_value
      - .offset:         32
        .size:           4
        .value_kind:     by_value
      - .offset:         36
        .size:           12
        .value_kind:     by_value
      - .offset:         48
        .size:           12
        .value_kind:     by_value
      - .offset:         60
        .size:           12
        .value_kind:     by_value
      - .offset:         72
        .size:           12
        .value_kind:     by_value
      - .offset:         84
        .size:           12
        .value_kind:     by_value
      - .offset:         96
        .size:           4
        .value_kind:     by_value
      - .offset:         100
        .size:           4
        .value_kind:     by_value
      - .offset:         104
        .size:           4
        .value_kind:     by_value
      - .offset:         108
        .size:           4
        .value_kind:     by_value
      - .offset:         112
        .size:           4
        .value_kind:     by_value
      - .offset:         116
        .size:           4
        .value_kind:     by_value
      - .offset:         120
        .size:           4
        .value_kind:     by_value
      - .offset:         124
        .size:           4
        .value_kind:     by_value
      - .offset:         128
        .size:           4
        .value_kind:     by_value
      - .offset:         132
        .size:           4
        .value_kind:     by_value
      - .offset:         136
        .size:           4
        .value_kind:     by_value
      - .address_space:  global
        .offset:         144
        .size:           8
        .value_kind:     global_buffer
      - .offset:         152
        .size:           4
        .value_kind:     hidden_block_count_x
      - .offset:         156
        .size:           4
        .value_kind:     hidden_block_count_y
      - .offset:         160
        .size:           4
        .value_kind:     hidden_block_count_z
      - .offset:         164
        .size:           2
        .value_kind:     hidden_group_size_x
      - .offset:         166
        .size:           2
        .value_kind:     hidden_group_size_y
      - .offset:         168
        .size:           2
        .value_kind:     hidden_group_size_z
      - .offset:         170
        .size:           2
        .value_kind:     hidden_remainder_x
      - .offset:         172
        .size:           2
        .value_kind:     hidden_remainder_y
      - .offset:         174
        .size:           2
        .value_kind:     hidden_remainder_z
      - .offset:         192
        .size:           8
        .value_kind:     hidden_global_offset_x
      - .offset:         200
        .size:           8
        .value_kind:     hidden_global_offset_y
      - .offset:         208
        .size:           8
        .value_kind:     hidden_global_offset_z
      - .offset:         216
        .size:           2
        .value_kind:     hidden_grid_dims
    .group_segment_fixed_size: 0
    .kernarg_segment_align: 8
    .kernarg_segment_size: 408
    .language:       OpenCL C
    .language_version:
      - 2
      - 0
    .max_flat_workgroup_size: 1024
    .name:           _ZL11k_bin_bcastIXadL_ZL6op_mulffEE6__halfffJPKfEEvPKT0_PKT1_PT2_iii15HIP_vector_typeIjLj3EESC_SC_SC_SC_iiiiiiiiiiiDpT3_
    .private_segment_fixed_size: 0
    .sgpr_count:     46
    .sgpr_spill_count: 0
    .symbol:         _ZL11k_bin_bcastIXadL_ZL6op_mulffEE6__halfffJPKfEEvPKT0_PKT1_PT2_iii15HIP_vector_typeIjLj3EESC_SC_SC_SC_iiiiiiiiiiiDpT3_.kd
    .uniform_work_group_size: 1
    .uses_dynamic_stack: false
    .vgpr_count:     15
    .vgpr_spill_count: 0
    .wavefront_size: 32
    .workgroup_processor_mode: 1
  - .args:
      - .address_space:  global
        .offset:         0
        .size:           8
        .value_kind:     global_buffer
      - .address_space:  global
        .offset:         8
        .size:           8
        .value_kind:     global_buffer
      - .address_space:  global
        .offset:         16
        .size:           8
        .value_kind:     global_buffer
      - .offset:         24
        .size:           12
        .value_kind:     by_value
      - .offset:         36
        .size:           12
        .value_kind:     by_value
      - .offset:         48
        .size:           12
        .value_kind:     by_value
      - .offset:         60
        .size:           4
        .value_kind:     by_value
      - .offset:         64
        .size:           12
        .value_kind:     by_value
      - .offset:         76
        .size:           12
        .value_kind:     by_value
      - .offset:         88
        .size:           12
        .value_kind:     by_value
      - .offset:         100
        .size:           12
        .value_kind:     by_value
      - .offset:         112
        .size:           12
        .value_kind:     by_value
      - .offset:         124
        .size:           12
        .value_kind:     by_value
      - .offset:         136
        .size:           4
        .value_kind:     by_value
      - .offset:         140
        .size:           4
        .value_kind:     by_value
      - .offset:         144
        .size:           4
        .value_kind:     by_value
      - .offset:         148
        .size:           4
        .value_kind:     by_value
      - .offset:         152
        .size:           4
        .value_kind:     by_value
      - .offset:         156
        .size:           4
        .value_kind:     by_value
      - .offset:         160
        .size:           4
        .value_kind:     by_value
      - .offset:         164
        .size:           4
        .value_kind:     by_value
      - .offset:         168
        .size:           4
        .value_kind:     by_value
      - .offset:         172
        .size:           4
        .value_kind:     by_value
      - .offset:         176
        .size:           4
        .value_kind:     by_value
      - .address_space:  global
        .offset:         184
        .size:           8
        .value_kind:     global_buffer
      - .offset:         192
        .size:           4
        .value_kind:     hidden_block_count_x
      - .offset:         196
        .size:           4
        .value_kind:     hidden_block_count_y
      - .offset:         200
        .size:           4
        .value_kind:     hidden_block_count_z
      - .offset:         204
        .size:           2
        .value_kind:     hidden_group_size_x
      - .offset:         206
        .size:           2
        .value_kind:     hidden_group_size_y
      - .offset:         208
        .size:           2
        .value_kind:     hidden_group_size_z
      - .offset:         210
        .size:           2
        .value_kind:     hidden_remainder_x
      - .offset:         212
        .size:           2
        .value_kind:     hidden_remainder_y
      - .offset:         214
        .size:           2
        .value_kind:     hidden_remainder_z
      - .offset:         232
        .size:           8
        .value_kind:     hidden_global_offset_x
      - .offset:         240
        .size:           8
        .value_kind:     hidden_global_offset_y
      - .offset:         248
        .size:           8
        .value_kind:     hidden_global_offset_z
      - .offset:         256
        .size:           2
        .value_kind:     hidden_grid_dims
    .group_segment_fixed_size: 0
    .kernarg_segment_align: 8
    .kernarg_segment_size: 448
    .language:       OpenCL C
    .language_version:
      - 2
      - 0
    .max_flat_workgroup_size: 1024
    .name:           _ZL19k_bin_bcast_unravelIXadL_ZL6op_divffEEfffJPKfEEvPKT0_PKT1_PT2_15HIP_vector_typeIjLj3EESB_SB_jSB_SB_SB_SB_SB_SB_iiiiiiiiiiiDpT3_
    .private_segment_fixed_size: 0
    .sgpr_count:     30
    .sgpr_spill_count: 0
    .symbol:         _ZL19k_bin_bcast_unravelIXadL_ZL6op_divffEEfffJPKfEEvPKT0_PKT1_PT2_15HIP_vector_typeIjLj3EESB_SB_jSB_SB_SB_SB_SB_SB_iiiiiiiiiiiDpT3_.kd
    .uniform_work_group_size: 1
    .uses_dynamic_stack: false
    .vgpr_count:     12
    .vgpr_spill_count: 0
    .wavefront_size: 32
    .workgroup_processor_mode: 1
  - .args:
      - .address_space:  global
        .offset:         0
        .size:           8
        .value_kind:     global_buffer
      - .address_space:  global
        .offset:         8
        .size:           8
        .value_kind:     global_buffer
      - .address_space:  global
        .offset:         16
        .size:           8
        .value_kind:     global_buffer
      - .offset:         24
        .size:           4
        .value_kind:     by_value
      - .offset:         28
        .size:           4
        .value_kind:     by_value
      - .offset:         32
        .size:           4
        .value_kind:     by_value
      - .offset:         36
        .size:           12
        .value_kind:     by_value
      - .offset:         48
        .size:           12
        .value_kind:     by_value
      - .offset:         60
        .size:           12
        .value_kind:     by_value
      - .offset:         72
        .size:           12
        .value_kind:     by_value
      - .offset:         84
        .size:           12
        .value_kind:     by_value
      - .offset:         96
        .size:           4
        .value_kind:     by_value
      - .offset:         100
        .size:           4
        .value_kind:     by_value
      - .offset:         104
        .size:           4
        .value_kind:     by_value
      - .offset:         108
        .size:           4
        .value_kind:     by_value
      - .offset:         112
        .size:           4
        .value_kind:     by_value
      - .offset:         116
        .size:           4
        .value_kind:     by_value
      - .offset:         120
        .size:           4
        .value_kind:     by_value
      - .offset:         124
        .size:           4
        .value_kind:     by_value
      - .offset:         128
        .size:           4
        .value_kind:     by_value
      - .offset:         132
        .size:           4
        .value_kind:     by_value
      - .offset:         136
        .size:           4
        .value_kind:     by_value
      - .address_space:  global
        .offset:         144
        .size:           8
        .value_kind:     global_buffer
      - .offset:         152
        .size:           4
        .value_kind:     hidden_block_count_x
      - .offset:         156
        .size:           4
        .value_kind:     hidden_block_count_y
      - .offset:         160
        .size:           4
        .value_kind:     hidden_block_count_z
      - .offset:         164
        .size:           2
        .value_kind:     hidden_group_size_x
      - .offset:         166
        .size:           2
        .value_kind:     hidden_group_size_y
      - .offset:         168
        .size:           2
        .value_kind:     hidden_group_size_z
      - .offset:         170
        .size:           2
        .value_kind:     hidden_remainder_x
      - .offset:         172
        .size:           2
        .value_kind:     hidden_remainder_y
      - .offset:         174
        .size:           2
        .value_kind:     hidden_remainder_z
      - .offset:         192
        .size:           8
        .value_kind:     hidden_global_offset_x
      - .offset:         200
        .size:           8
        .value_kind:     hidden_global_offset_y
      - .offset:         208
        .size:           8
        .value_kind:     hidden_global_offset_z
      - .offset:         216
        .size:           2
        .value_kind:     hidden_grid_dims
    .group_segment_fixed_size: 0
    .kernarg_segment_align: 8
    .kernarg_segment_size: 408
    .language:       OpenCL C
    .language_version:
      - 2
      - 0
    .max_flat_workgroup_size: 1024
    .name:           _ZL11k_bin_bcastIXadL_ZL6op_divffEEfffJPKfEEvPKT0_PKT1_PT2_iii15HIP_vector_typeIjLj3EESB_SB_SB_SB_iiiiiiiiiiiDpT3_
    .private_segment_fixed_size: 0
    .sgpr_count:     46
    .sgpr_spill_count: 0
    .symbol:         _ZL11k_bin_bcastIXadL_ZL6op_divffEEfffJPKfEEvPKT0_PKT1_PT2_iii15HIP_vector_typeIjLj3EESB_SB_SB_SB_iiiiiiiiiiiDpT3_.kd
    .uniform_work_group_size: 1
    .uses_dynamic_stack: false
    .vgpr_count:     17
    .vgpr_spill_count: 0
    .wavefront_size: 32
    .workgroup_processor_mode: 1
  - .args:
      - .address_space:  global
        .offset:         0
        .size:           8
        .value_kind:     global_buffer
      - .address_space:  global
        .offset:         8
        .size:           8
        .value_kind:     global_buffer
      - .address_space:  global
        .offset:         16
        .size:           8
        .value_kind:     global_buffer
      - .offset:         24
        .size:           12
        .value_kind:     by_value
      - .offset:         36
        .size:           12
        .value_kind:     by_value
      - .offset:         48
        .size:           12
        .value_kind:     by_value
      - .offset:         60
        .size:           4
        .value_kind:     by_value
      - .offset:         64
        .size:           12
        .value_kind:     by_value
      - .offset:         76
        .size:           12
        .value_kind:     by_value
      - .offset:         88
        .size:           12
        .value_kind:     by_value
      - .offset:         100
        .size:           12
        .value_kind:     by_value
      - .offset:         112
        .size:           12
        .value_kind:     by_value
      - .offset:         124
        .size:           12
        .value_kind:     by_value
      - .offset:         136
        .size:           4
        .value_kind:     by_value
      - .offset:         140
        .size:           4
        .value_kind:     by_value
      - .offset:         144
        .size:           4
        .value_kind:     by_value
      - .offset:         148
        .size:           4
        .value_kind:     by_value
      - .offset:         152
        .size:           4
        .value_kind:     by_value
      - .offset:         156
        .size:           4
        .value_kind:     by_value
      - .offset:         160
        .size:           4
        .value_kind:     by_value
      - .offset:         164
        .size:           4
        .value_kind:     by_value
      - .offset:         168
        .size:           4
        .value_kind:     by_value
      - .offset:         172
        .size:           4
        .value_kind:     by_value
      - .offset:         176
        .size:           4
        .value_kind:     by_value
      - .address_space:  global
        .offset:         184
        .size:           8
        .value_kind:     global_buffer
      - .offset:         192
        .size:           4
        .value_kind:     hidden_block_count_x
      - .offset:         196
        .size:           4
        .value_kind:     hidden_block_count_y
      - .offset:         200
        .size:           4
        .value_kind:     hidden_block_count_z
      - .offset:         204
        .size:           2
        .value_kind:     hidden_group_size_x
      - .offset:         206
        .size:           2
        .value_kind:     hidden_group_size_y
      - .offset:         208
        .size:           2
        .value_kind:     hidden_group_size_z
      - .offset:         210
        .size:           2
        .value_kind:     hidden_remainder_x
      - .offset:         212
        .size:           2
        .value_kind:     hidden_remainder_y
      - .offset:         214
        .size:           2
        .value_kind:     hidden_remainder_z
      - .offset:         232
        .size:           8
        .value_kind:     hidden_global_offset_x
      - .offset:         240
        .size:           8
        .value_kind:     hidden_global_offset_y
      - .offset:         248
        .size:           8
        .value_kind:     hidden_global_offset_z
      - .offset:         256
        .size:           2
        .value_kind:     hidden_grid_dims
    .group_segment_fixed_size: 0
    .kernarg_segment_align: 8
    .kernarg_segment_size: 448
    .language:       OpenCL C
    .language_version:
      - 2
      - 0
    .max_flat_workgroup_size: 1024
    .name:           _ZL19k_bin_bcast_unravelIXadL_ZL6op_divffEE6__halfS0_S0_JPKS0_EEvPKT0_PKT1_PT2_15HIP_vector_typeIjLj3EESC_SC_jSC_SC_SC_SC_SC_SC_iiiiiiiiiiiDpT3_
    .private_segment_fixed_size: 0
    .sgpr_count:     30
    .sgpr_spill_count: 0
    .symbol:         _ZL19k_bin_bcast_unravelIXadL_ZL6op_divffEE6__halfS0_S0_JPKS0_EEvPKT0_PKT1_PT2_15HIP_vector_typeIjLj3EESC_SC_jSC_SC_SC_SC_SC_SC_iiiiiiiiiiiDpT3_.kd
    .uniform_work_group_size: 1
    .uses_dynamic_stack: false
    .vgpr_count:     12
    .vgpr_spill_count: 0
    .wavefront_size: 32
    .workgroup_processor_mode: 1
  - .args:
      - .address_space:  global
        .offset:         0
        .size:           8
        .value_kind:     global_buffer
      - .address_space:  global
        .offset:         8
        .size:           8
        .value_kind:     global_buffer
      - .address_space:  global
        .offset:         16
        .size:           8
        .value_kind:     global_buffer
      - .offset:         24
        .size:           4
        .value_kind:     by_value
      - .offset:         28
        .size:           4
        .value_kind:     by_value
      - .offset:         32
        .size:           4
        .value_kind:     by_value
      - .offset:         36
        .size:           12
        .value_kind:     by_value
      - .offset:         48
        .size:           12
        .value_kind:     by_value
      - .offset:         60
        .size:           12
        .value_kind:     by_value
      - .offset:         72
        .size:           12
        .value_kind:     by_value
      - .offset:         84
        .size:           12
        .value_kind:     by_value
      - .offset:         96
        .size:           4
        .value_kind:     by_value
      - .offset:         100
        .size:           4
        .value_kind:     by_value
      - .offset:         104
        .size:           4
        .value_kind:     by_value
      - .offset:         108
        .size:           4
        .value_kind:     by_value
      - .offset:         112
        .size:           4
        .value_kind:     by_value
      - .offset:         116
        .size:           4
        .value_kind:     by_value
      - .offset:         120
        .size:           4
        .value_kind:     by_value
      - .offset:         124
        .size:           4
        .value_kind:     by_value
      - .offset:         128
        .size:           4
        .value_kind:     by_value
      - .offset:         132
        .size:           4
        .value_kind:     by_value
      - .offset:         136
        .size:           4
        .value_kind:     by_value
      - .address_space:  global
        .offset:         144
        .size:           8
        .value_kind:     global_buffer
      - .offset:         152
        .size:           4
        .value_kind:     hidden_block_count_x
      - .offset:         156
        .size:           4
        .value_kind:     hidden_block_count_y
      - .offset:         160
        .size:           4
        .value_kind:     hidden_block_count_z
      - .offset:         164
        .size:           2
        .value_kind:     hidden_group_size_x
      - .offset:         166
        .size:           2
        .value_kind:     hidden_group_size_y
      - .offset:         168
        .size:           2
        .value_kind:     hidden_group_size_z
      - .offset:         170
        .size:           2
        .value_kind:     hidden_remainder_x
      - .offset:         172
        .size:           2
        .value_kind:     hidden_remainder_y
      - .offset:         174
        .size:           2
        .value_kind:     hidden_remainder_z
      - .offset:         192
        .size:           8
        .value_kind:     hidden_global_offset_x
      - .offset:         200
        .size:           8
        .value_kind:     hidden_global_offset_y
      - .offset:         208
        .size:           8
        .value_kind:     hidden_global_offset_z
      - .offset:         216
        .size:           2
        .value_kind:     hidden_grid_dims
    .group_segment_fixed_size: 0
    .kernarg_segment_align: 8
    .kernarg_segment_size: 408
    .language:       OpenCL C
    .language_version:
      - 2
      - 0
    .max_flat_workgroup_size: 1024
    .name:           _ZL11k_bin_bcastIXadL_ZL6op_divffEE6__halfS0_S0_JPKS0_EEvPKT0_PKT1_PT2_iii15HIP_vector_typeIjLj3EESC_SC_SC_SC_iiiiiiiiiiiDpT3_
    .private_segment_fixed_size: 0
    .sgpr_count:     46
    .sgpr_spill_count: 0
    .symbol:         _ZL11k_bin_bcastIXadL_ZL6op_divffEE6__halfS0_S0_JPKS0_EEvPKT0_PKT1_PT2_iii15HIP_vector_typeIjLj3EESC_SC_SC_SC_iiiiiiiiiiiDpT3_.kd
    .uniform_work_group_size: 1
    .uses_dynamic_stack: false
    .vgpr_count:     16
    .vgpr_spill_count: 0
    .wavefront_size: 32
    .workgroup_processor_mode: 1
  - .args:
      - .address_space:  global
        .offset:         0
        .size:           8
        .value_kind:     global_buffer
      - .address_space:  global
        .offset:         8
        .size:           8
        .value_kind:     global_buffer
      - .address_space:  global
        .offset:         16
        .size:           8
        .value_kind:     global_buffer
      - .offset:         24
        .size:           12
        .value_kind:     by_value
      - .offset:         36
        .size:           12
        .value_kind:     by_value
      - .offset:         48
        .size:           12
        .value_kind:     by_value
      - .offset:         60
        .size:           4
        .value_kind:     by_value
      - .offset:         64
        .size:           12
        .value_kind:     by_value
      - .offset:         76
        .size:           12
        .value_kind:     by_value
      - .offset:         88
        .size:           12
        .value_kind:     by_value
      - .offset:         100
        .size:           12
        .value_kind:     by_value
      - .offset:         112
        .size:           12
        .value_kind:     by_value
      - .offset:         124
        .size:           12
        .value_kind:     by_value
      - .offset:         136
        .size:           4
        .value_kind:     by_value
      - .offset:         140
        .size:           4
        .value_kind:     by_value
      - .offset:         144
        .size:           4
        .value_kind:     by_value
      - .offset:         148
        .size:           4
        .value_kind:     by_value
      - .offset:         152
        .size:           4
        .value_kind:     by_value
      - .offset:         156
        .size:           4
        .value_kind:     by_value
      - .offset:         160
        .size:           4
        .value_kind:     by_value
      - .offset:         164
        .size:           4
        .value_kind:     by_value
      - .offset:         168
        .size:           4
        .value_kind:     by_value
      - .offset:         172
        .size:           4
        .value_kind:     by_value
      - .offset:         176
        .size:           4
        .value_kind:     by_value
      - .address_space:  global
        .offset:         184
        .size:           8
        .value_kind:     global_buffer
      - .offset:         192
        .size:           4
        .value_kind:     hidden_block_count_x
      - .offset:         196
        .size:           4
        .value_kind:     hidden_block_count_y
      - .offset:         200
        .size:           4
        .value_kind:     hidden_block_count_z
      - .offset:         204
        .size:           2
        .value_kind:     hidden_group_size_x
      - .offset:         206
        .size:           2
        .value_kind:     hidden_group_size_y
      - .offset:         208
        .size:           2
        .value_kind:     hidden_group_size_z
      - .offset:         210
        .size:           2
        .value_kind:     hidden_remainder_x
      - .offset:         212
        .size:           2
        .value_kind:     hidden_remainder_y
      - .offset:         214
        .size:           2
        .value_kind:     hidden_remainder_z
      - .offset:         232
        .size:           8
        .value_kind:     hidden_global_offset_x
      - .offset:         240
        .size:           8
        .value_kind:     hidden_global_offset_y
      - .offset:         248
        .size:           8
        .value_kind:     hidden_global_offset_z
      - .offset:         256
        .size:           2
        .value_kind:     hidden_grid_dims
    .group_segment_fixed_size: 0
    .kernarg_segment_align: 8
    .kernarg_segment_size: 448
    .language:       OpenCL C
    .language_version:
      - 2
      - 0
    .max_flat_workgroup_size: 1024
    .name:           _ZL19k_bin_bcast_unravelIXadL_ZL6op_divffEE6__halffS0_JPKfEEvPKT0_PKT1_PT2_15HIP_vector_typeIjLj3EESC_SC_jSC_SC_SC_SC_SC_SC_iiiiiiiiiiiDpT3_
    .private_segment_fixed_size: 0
    .sgpr_count:     30
    .sgpr_spill_count: 0
    .symbol:         _ZL19k_bin_bcast_unravelIXadL_ZL6op_divffEE6__halffS0_JPKfEEvPKT0_PKT1_PT2_15HIP_vector_typeIjLj3EESC_SC_jSC_SC_SC_SC_SC_SC_iiiiiiiiiiiDpT3_.kd
    .uniform_work_group_size: 1
    .uses_dynamic_stack: false
    .vgpr_count:     12
    .vgpr_spill_count: 0
    .wavefront_size: 32
    .workgroup_processor_mode: 1
  - .args:
      - .address_space:  global
        .offset:         0
        .size:           8
        .value_kind:     global_buffer
      - .address_space:  global
        .offset:         8
        .size:           8
        .value_kind:     global_buffer
      - .address_space:  global
        .offset:         16
        .size:           8
        .value_kind:     global_buffer
      - .offset:         24
        .size:           4
        .value_kind:     by_value
      - .offset:         28
        .size:           4
        .value_kind:     by_value
      - .offset:         32
        .size:           4
        .value_kind:     by_value
      - .offset:         36
        .size:           12
        .value_kind:     by_value
      - .offset:         48
        .size:           12
        .value_kind:     by_value
      - .offset:         60
        .size:           12
        .value_kind:     by_value
      - .offset:         72
        .size:           12
        .value_kind:     by_value
      - .offset:         84
        .size:           12
        .value_kind:     by_value
      - .offset:         96
        .size:           4
        .value_kind:     by_value
      - .offset:         100
        .size:           4
        .value_kind:     by_value
      - .offset:         104
        .size:           4
        .value_kind:     by_value
      - .offset:         108
        .size:           4
        .value_kind:     by_value
      - .offset:         112
        .size:           4
        .value_kind:     by_value
      - .offset:         116
        .size:           4
        .value_kind:     by_value
      - .offset:         120
        .size:           4
        .value_kind:     by_value
      - .offset:         124
        .size:           4
        .value_kind:     by_value
      - .offset:         128
        .size:           4
        .value_kind:     by_value
      - .offset:         132
        .size:           4
        .value_kind:     by_value
      - .offset:         136
        .size:           4
        .value_kind:     by_value
      - .address_space:  global
        .offset:         144
        .size:           8
        .value_kind:     global_buffer
      - .offset:         152
        .size:           4
        .value_kind:     hidden_block_count_x
      - .offset:         156
        .size:           4
        .value_kind:     hidden_block_count_y
      - .offset:         160
        .size:           4
        .value_kind:     hidden_block_count_z
      - .offset:         164
        .size:           2
        .value_kind:     hidden_group_size_x
      - .offset:         166
        .size:           2
        .value_kind:     hidden_group_size_y
      - .offset:         168
        .size:           2
        .value_kind:     hidden_group_size_z
      - .offset:         170
        .size:           2
        .value_kind:     hidden_remainder_x
      - .offset:         172
        .size:           2
        .value_kind:     hidden_remainder_y
      - .offset:         174
        .size:           2
        .value_kind:     hidden_remainder_z
      - .offset:         192
        .size:           8
        .value_kind:     hidden_global_offset_x
      - .offset:         200
        .size:           8
        .value_kind:     hidden_global_offset_y
      - .offset:         208
        .size:           8
        .value_kind:     hidden_global_offset_z
      - .offset:         216
        .size:           2
        .value_kind:     hidden_grid_dims
    .group_segment_fixed_size: 0
    .kernarg_segment_align: 8
    .kernarg_segment_size: 408
    .language:       OpenCL C
    .language_version:
      - 2
      - 0
    .max_flat_workgroup_size: 1024
    .name:           _ZL11k_bin_bcastIXadL_ZL6op_divffEE6__halffS0_JPKfEEvPKT0_PKT1_PT2_iii15HIP_vector_typeIjLj3EESC_SC_SC_SC_iiiiiiiiiiiDpT3_
    .private_segment_fixed_size: 0
    .sgpr_count:     46
    .sgpr_spill_count: 0
    .symbol:         _ZL11k_bin_bcastIXadL_ZL6op_divffEE6__halffS0_JPKfEEvPKT0_PKT1_PT2_iii15HIP_vector_typeIjLj3EESC_SC_SC_SC_iiiiiiiiiiiDpT3_.kd
    .uniform_work_group_size: 1
    .uses_dynamic_stack: false
    .vgpr_count:     16
    .vgpr_spill_count: 0
    .wavefront_size: 32
    .workgroup_processor_mode: 1
  - .args:
      - .address_space:  global
        .offset:         0
        .size:           8
        .value_kind:     global_buffer
      - .address_space:  global
        .offset:         8
        .size:           8
        .value_kind:     global_buffer
      - .address_space:  global
        .offset:         16
        .size:           8
        .value_kind:     global_buffer
      - .offset:         24
        .size:           12
        .value_kind:     by_value
      - .offset:         36
        .size:           12
        .value_kind:     by_value
      - .offset:         48
        .size:           12
        .value_kind:     by_value
      - .offset:         60
        .size:           4
        .value_kind:     by_value
      - .offset:         64
        .size:           12
        .value_kind:     by_value
      - .offset:         76
        .size:           12
        .value_kind:     by_value
      - .offset:         88
        .size:           12
        .value_kind:     by_value
      - .offset:         100
        .size:           12
        .value_kind:     by_value
      - .offset:         112
        .size:           12
        .value_kind:     by_value
      - .offset:         124
        .size:           12
        .value_kind:     by_value
      - .offset:         136
        .size:           4
        .value_kind:     by_value
      - .offset:         140
        .size:           4
        .value_kind:     by_value
      - .offset:         144
        .size:           4
        .value_kind:     by_value
      - .offset:         148
        .size:           4
        .value_kind:     by_value
      - .offset:         152
        .size:           4
        .value_kind:     by_value
      - .offset:         156
        .size:           4
        .value_kind:     by_value
      - .offset:         160
        .size:           4
        .value_kind:     by_value
      - .offset:         164
        .size:           4
        .value_kind:     by_value
      - .offset:         168
        .size:           4
        .value_kind:     by_value
      - .offset:         172
        .size:           4
        .value_kind:     by_value
      - .offset:         176
        .size:           4
        .value_kind:     by_value
      - .address_space:  global
        .offset:         184
        .size:           8
        .value_kind:     global_buffer
      - .offset:         192
        .size:           4
        .value_kind:     hidden_block_count_x
      - .offset:         196
        .size:           4
        .value_kind:     hidden_block_count_y
      - .offset:         200
        .size:           4
        .value_kind:     hidden_block_count_z
      - .offset:         204
        .size:           2
        .value_kind:     hidden_group_size_x
      - .offset:         206
        .size:           2
        .value_kind:     hidden_group_size_y
      - .offset:         208
        .size:           2
        .value_kind:     hidden_group_size_z
      - .offset:         210
        .size:           2
        .value_kind:     hidden_remainder_x
      - .offset:         212
        .size:           2
        .value_kind:     hidden_remainder_y
      - .offset:         214
        .size:           2
        .value_kind:     hidden_remainder_z
      - .offset:         232
        .size:           8
        .value_kind:     hidden_global_offset_x
      - .offset:         240
        .size:           8
        .value_kind:     hidden_global_offset_y
      - .offset:         248
        .size:           8
        .value_kind:     hidden_global_offset_z
      - .offset:         256
        .size:           2
        .value_kind:     hidden_grid_dims
    .group_segment_fixed_size: 0
    .kernarg_segment_align: 8
    .kernarg_segment_size: 448
    .language:       OpenCL C
    .language_version:
      - 2
      - 0
    .max_flat_workgroup_size: 1024
    .name:           _ZL19k_bin_bcast_unravelIXadL_ZL6op_divffEE6__halfffJPKfEEvPKT0_PKT1_PT2_15HIP_vector_typeIjLj3EESC_SC_jSC_SC_SC_SC_SC_SC_iiiiiiiiiiiDpT3_
    .private_segment_fixed_size: 0
    .sgpr_count:     30
    .sgpr_spill_count: 0
    .symbol:         _ZL19k_bin_bcast_unravelIXadL_ZL6op_divffEE6__halfffJPKfEEvPKT0_PKT1_PT2_15HIP_vector_typeIjLj3EESC_SC_jSC_SC_SC_SC_SC_SC_iiiiiiiiiiiDpT3_.kd
    .uniform_work_group_size: 1
    .uses_dynamic_stack: false
    .vgpr_count:     12
    .vgpr_spill_count: 0
    .wavefront_size: 32
    .workgroup_processor_mode: 1
  - .args:
      - .address_space:  global
        .offset:         0
        .size:           8
        .value_kind:     global_buffer
      - .address_space:  global
        .offset:         8
        .size:           8
        .value_kind:     global_buffer
      - .address_space:  global
        .offset:         16
        .size:           8
        .value_kind:     global_buffer
      - .offset:         24
        .size:           4
        .value_kind:     by_value
      - .offset:         28
        .size:           4
        .value_kind:     by_value
      - .offset:         32
        .size:           4
        .value_kind:     by_value
      - .offset:         36
        .size:           12
        .value_kind:     by_value
      - .offset:         48
        .size:           12
        .value_kind:     by_value
      - .offset:         60
        .size:           12
        .value_kind:     by_value
      - .offset:         72
        .size:           12
        .value_kind:     by_value
      - .offset:         84
        .size:           12
        .value_kind:     by_value
      - .offset:         96
        .size:           4
        .value_kind:     by_value
      - .offset:         100
        .size:           4
        .value_kind:     by_value
      - .offset:         104
        .size:           4
        .value_kind:     by_value
      - .offset:         108
        .size:           4
        .value_kind:     by_value
      - .offset:         112
        .size:           4
        .value_kind:     by_value
      - .offset:         116
        .size:           4
        .value_kind:     by_value
      - .offset:         120
        .size:           4
        .value_kind:     by_value
      - .offset:         124
        .size:           4
        .value_kind:     by_value
      - .offset:         128
        .size:           4
        .value_kind:     by_value
      - .offset:         132
        .size:           4
        .value_kind:     by_value
      - .offset:         136
        .size:           4
        .value_kind:     by_value
      - .address_space:  global
        .offset:         144
        .size:           8
        .value_kind:     global_buffer
      - .offset:         152
        .size:           4
        .value_kind:     hidden_block_count_x
      - .offset:         156
        .size:           4
        .value_kind:     hidden_block_count_y
      - .offset:         160
        .size:           4
        .value_kind:     hidden_block_count_z
      - .offset:         164
        .size:           2
        .value_kind:     hidden_group_size_x
      - .offset:         166
        .size:           2
        .value_kind:     hidden_group_size_y
      - .offset:         168
        .size:           2
        .value_kind:     hidden_group_size_z
      - .offset:         170
        .size:           2
        .value_kind:     hidden_remainder_x
      - .offset:         172
        .size:           2
        .value_kind:     hidden_remainder_y
      - .offset:         174
        .size:           2
        .value_kind:     hidden_remainder_z
      - .offset:         192
        .size:           8
        .value_kind:     hidden_global_offset_x
      - .offset:         200
        .size:           8
        .value_kind:     hidden_global_offset_y
      - .offset:         208
        .size:           8
        .value_kind:     hidden_global_offset_z
      - .offset:         216
        .size:           2
        .value_kind:     hidden_grid_dims
    .group_segment_fixed_size: 0
    .kernarg_segment_align: 8
    .kernarg_segment_size: 408
    .language:       OpenCL C
    .language_version:
      - 2
      - 0
    .max_flat_workgroup_size: 1024
    .name:           _ZL11k_bin_bcastIXadL_ZL6op_divffEE6__halfffJPKfEEvPKT0_PKT1_PT2_iii15HIP_vector_typeIjLj3EESC_SC_SC_SC_iiiiiiiiiiiDpT3_
    .private_segment_fixed_size: 0
    .sgpr_count:     46
    .sgpr_spill_count: 0
    .symbol:         _ZL11k_bin_bcastIXadL_ZL6op_divffEE6__halfffJPKfEEvPKT0_PKT1_PT2_iii15HIP_vector_typeIjLj3EESC_SC_SC_SC_iiiiiiiiiiiDpT3_.kd
    .uniform_work_group_size: 1
    .uses_dynamic_stack: false
    .vgpr_count:     17
    .vgpr_spill_count: 0
    .wavefront_size: 32
    .workgroup_processor_mode: 1
  - .args:
      - .address_space:  global
        .offset:         0
        .size:           8
        .value_kind:     global_buffer
      - .address_space:  global
        .offset:         8
        .size:           8
        .value_kind:     global_buffer
      - .address_space:  global
        .offset:         16
        .size:           8
        .value_kind:     global_buffer
      - .offset:         24
        .size:           12
        .value_kind:     by_value
      - .offset:         36
        .size:           12
        .value_kind:     by_value
      - .offset:         48
        .size:           12
        .value_kind:     by_value
      - .offset:         60
        .size:           4
        .value_kind:     by_value
      - .offset:         64
        .size:           12
        .value_kind:     by_value
      - .offset:         76
        .size:           12
        .value_kind:     by_value
      - .offset:         88
        .size:           12
        .value_kind:     by_value
      - .offset:         100
        .size:           12
        .value_kind:     by_value
      - .offset:         112
        .size:           12
        .value_kind:     by_value
      - .offset:         124
        .size:           12
        .value_kind:     by_value
      - .offset:         136
        .size:           4
        .value_kind:     by_value
      - .offset:         140
        .size:           4
        .value_kind:     by_value
      - .offset:         144
        .size:           4
        .value_kind:     by_value
      - .offset:         148
        .size:           4
        .value_kind:     by_value
      - .offset:         152
        .size:           4
        .value_kind:     by_value
      - .offset:         156
        .size:           4
        .value_kind:     by_value
      - .offset:         160
        .size:           4
        .value_kind:     by_value
      - .offset:         164
        .size:           4
        .value_kind:     by_value
      - .offset:         168
        .size:           4
        .value_kind:     by_value
      - .offset:         172
        .size:           4
        .value_kind:     by_value
      - .offset:         176
        .size:           4
        .value_kind:     by_value
      - .address_space:  global
        .offset:         184
        .size:           8
        .value_kind:     global_buffer
      - .address_space:  global
        .offset:         192
        .size:           8
        .value_kind:     global_buffer
      - .offset:         200
        .size:           4
        .value_kind:     hidden_block_count_x
      - .offset:         204
        .size:           4
        .value_kind:     hidden_block_count_y
      - .offset:         208
        .size:           4
        .value_kind:     hidden_block_count_z
      - .offset:         212
        .size:           2
        .value_kind:     hidden_group_size_x
      - .offset:         214
        .size:           2
        .value_kind:     hidden_group_size_y
      - .offset:         216
        .size:           2
        .value_kind:     hidden_group_size_z
      - .offset:         218
        .size:           2
        .value_kind:     hidden_remainder_x
      - .offset:         220
        .size:           2
        .value_kind:     hidden_remainder_y
      - .offset:         222
        .size:           2
        .value_kind:     hidden_remainder_z
      - .offset:         240
        .size:           8
        .value_kind:     hidden_global_offset_x
      - .offset:         248
        .size:           8
        .value_kind:     hidden_global_offset_y
      - .offset:         256
        .size:           8
        .value_kind:     hidden_global_offset_z
      - .offset:         264
        .size:           2
        .value_kind:     hidden_grid_dims
    .group_segment_fixed_size: 0
    .kernarg_segment_align: 8
    .kernarg_segment_size: 456
    .language:       OpenCL C
    .language_version:
      - 2
      - 0
    .max_flat_workgroup_size: 1024
    .name:           _ZL19k_bin_bcast_unravelIXadL_ZL6op_addffEEfffJPKfS1_EEvPKT0_PKT1_PT2_15HIP_vector_typeIjLj3EESB_SB_jSB_SB_SB_SB_SB_SB_iiiiiiiiiiiDpT3_
    .private_segment_fixed_size: 0
    .sgpr_count:     30
    .sgpr_spill_count: 0
    .symbol:         _ZL19k_bin_bcast_unravelIXadL_ZL6op_addffEEfffJPKfS1_EEvPKT0_PKT1_PT2_15HIP_vector_typeIjLj3EESB_SB_jSB_SB_SB_SB_SB_SB_iiiiiiiiiiiDpT3_.kd
    .uniform_work_group_size: 1
    .uses_dynamic_stack: false
    .vgpr_count:     9
    .vgpr_spill_count: 0
    .wavefront_size: 32
    .workgroup_processor_mode: 1
  - .args:
      - .address_space:  global
        .offset:         0
        .size:           8
        .value_kind:     global_buffer
      - .address_space:  global
        .offset:         8
        .size:           8
        .value_kind:     global_buffer
      - .address_space:  global
        .offset:         16
        .size:           8
        .value_kind:     global_buffer
      - .offset:         24
        .size:           4
        .value_kind:     by_value
      - .offset:         28
        .size:           4
        .value_kind:     by_value
      - .offset:         32
        .size:           4
        .value_kind:     by_value
      - .offset:         36
        .size:           12
        .value_kind:     by_value
      - .offset:         48
        .size:           12
        .value_kind:     by_value
      - .offset:         60
        .size:           12
        .value_kind:     by_value
      - .offset:         72
        .size:           12
        .value_kind:     by_value
      - .offset:         84
        .size:           12
        .value_kind:     by_value
      - .offset:         96
        .size:           4
        .value_kind:     by_value
      - .offset:         100
        .size:           4
        .value_kind:     by_value
      - .offset:         104
        .size:           4
        .value_kind:     by_value
      - .offset:         108
        .size:           4
        .value_kind:     by_value
      - .offset:         112
        .size:           4
        .value_kind:     by_value
      - .offset:         116
        .size:           4
        .value_kind:     by_value
      - .offset:         120
        .size:           4
        .value_kind:     by_value
      - .offset:         124
        .size:           4
        .value_kind:     by_value
      - .offset:         128
        .size:           4
        .value_kind:     by_value
      - .offset:         132
        .size:           4
        .value_kind:     by_value
      - .offset:         136
        .size:           4
        .value_kind:     by_value
      - .address_space:  global
        .offset:         144
        .size:           8
        .value_kind:     global_buffer
      - .address_space:  global
        .offset:         152
        .size:           8
        .value_kind:     global_buffer
      - .offset:         160
        .size:           4
        .value_kind:     hidden_block_count_x
      - .offset:         164
        .size:           4
        .value_kind:     hidden_block_count_y
      - .offset:         168
        .size:           4
        .value_kind:     hidden_block_count_z
      - .offset:         172
        .size:           2
        .value_kind:     hidden_group_size_x
      - .offset:         174
        .size:           2
        .value_kind:     hidden_group_size_y
      - .offset:         176
        .size:           2
        .value_kind:     hidden_group_size_z
      - .offset:         178
        .size:           2
        .value_kind:     hidden_remainder_x
      - .offset:         180
        .size:           2
        .value_kind:     hidden_remainder_y
      - .offset:         182
        .size:           2
        .value_kind:     hidden_remainder_z
      - .offset:         200
        .size:           8
        .value_kind:     hidden_global_offset_x
      - .offset:         208
        .size:           8
        .value_kind:     hidden_global_offset_y
      - .offset:         216
        .size:           8
        .value_kind:     hidden_global_offset_z
      - .offset:         224
        .size:           2
        .value_kind:     hidden_grid_dims
    .group_segment_fixed_size: 0
    .kernarg_segment_align: 8
    .kernarg_segment_size: 416
    .language:       OpenCL C
    .language_version:
      - 2
      - 0
    .max_flat_workgroup_size: 1024
    .name:           _ZL11k_bin_bcastIXadL_ZL6op_addffEEfffJPKfS1_EEvPKT0_PKT1_PT2_iii15HIP_vector_typeIjLj3EESB_SB_SB_SB_iiiiiiiiiiiDpT3_
    .private_segment_fixed_size: 0
    .sgpr_count:     46
    .sgpr_spill_count: 0
    .symbol:         _ZL11k_bin_bcastIXadL_ZL6op_addffEEfffJPKfS1_EEvPKT0_PKT1_PT2_iii15HIP_vector_typeIjLj3EESB_SB_SB_SB_iiiiiiiiiiiDpT3_.kd
    .uniform_work_group_size: 1
    .uses_dynamic_stack: false
    .vgpr_count:     17
    .vgpr_spill_count: 0
    .wavefront_size: 32
    .workgroup_processor_mode: 1
  - .args:
      - .address_space:  global
        .offset:         0
        .size:           8
        .value_kind:     global_buffer
      - .address_space:  global
        .offset:         8
        .size:           8
        .value_kind:     global_buffer
      - .address_space:  global
        .offset:         16
        .size:           8
        .value_kind:     global_buffer
      - .offset:         24
        .size:           12
        .value_kind:     by_value
      - .offset:         36
        .size:           12
        .value_kind:     by_value
      - .offset:         48
        .size:           12
        .value_kind:     by_value
      - .offset:         60
        .size:           4
        .value_kind:     by_value
      - .offset:         64
        .size:           12
        .value_kind:     by_value
      - .offset:         76
        .size:           12
        .value_kind:     by_value
      - .offset:         88
        .size:           12
        .value_kind:     by_value
      - .offset:         100
        .size:           12
        .value_kind:     by_value
      - .offset:         112
        .size:           12
        .value_kind:     by_value
      - .offset:         124
        .size:           12
        .value_kind:     by_value
      - .offset:         136
        .size:           4
        .value_kind:     by_value
      - .offset:         140
        .size:           4
        .value_kind:     by_value
      - .offset:         144
        .size:           4
        .value_kind:     by_value
      - .offset:         148
        .size:           4
        .value_kind:     by_value
      - .offset:         152
        .size:           4
        .value_kind:     by_value
      - .offset:         156
        .size:           4
        .value_kind:     by_value
      - .offset:         160
        .size:           4
        .value_kind:     by_value
      - .offset:         164
        .size:           4
        .value_kind:     by_value
      - .offset:         168
        .size:           4
        .value_kind:     by_value
      - .offset:         172
        .size:           4
        .value_kind:     by_value
      - .offset:         176
        .size:           4
        .value_kind:     by_value
      - .address_space:  global
        .offset:         184
        .size:           8
        .value_kind:     global_buffer
      - .address_space:  global
        .offset:         192
        .size:           8
        .value_kind:     global_buffer
      - .offset:         200
        .size:           4
        .value_kind:     hidden_block_count_x
      - .offset:         204
        .size:           4
        .value_kind:     hidden_block_count_y
      - .offset:         208
        .size:           4
        .value_kind:     hidden_block_count_z
      - .offset:         212
        .size:           2
        .value_kind:     hidden_group_size_x
      - .offset:         214
        .size:           2
        .value_kind:     hidden_group_size_y
      - .offset:         216
        .size:           2
        .value_kind:     hidden_group_size_z
      - .offset:         218
        .size:           2
        .value_kind:     hidden_remainder_x
      - .offset:         220
        .size:           2
        .value_kind:     hidden_remainder_y
      - .offset:         222
        .size:           2
        .value_kind:     hidden_remainder_z
      - .offset:         240
        .size:           8
        .value_kind:     hidden_global_offset_x
      - .offset:         248
        .size:           8
        .value_kind:     hidden_global_offset_y
      - .offset:         256
        .size:           8
        .value_kind:     hidden_global_offset_z
      - .offset:         264
        .size:           2
        .value_kind:     hidden_grid_dims
    .group_segment_fixed_size: 0
    .kernarg_segment_align: 8
    .kernarg_segment_size: 456
    .language:       OpenCL C
    .language_version:
      - 2
      - 0
    .max_flat_workgroup_size: 1024
    .name:           _ZL19k_bin_bcast_unravelIXadL_ZL6op_addffEE6__halfS0_S0_JPKS0_S2_EEvPKT0_PKT1_PT2_15HIP_vector_typeIjLj3EESC_SC_jSC_SC_SC_SC_SC_SC_iiiiiiiiiiiDpT3_
    .private_segment_fixed_size: 0
    .sgpr_count:     30
    .sgpr_spill_count: 0
    .symbol:         _ZL19k_bin_bcast_unravelIXadL_ZL6op_addffEE6__halfS0_S0_JPKS0_S2_EEvPKT0_PKT1_PT2_15HIP_vector_typeIjLj3EESC_SC_jSC_SC_SC_SC_SC_SC_iiiiiiiiiiiDpT3_.kd
    .uniform_work_group_size: 1
    .uses_dynamic_stack: false
    .vgpr_count:     9
    .vgpr_spill_count: 0
    .wavefront_size: 32
    .workgroup_processor_mode: 1
  - .args:
      - .address_space:  global
        .offset:         0
        .size:           8
        .value_kind:     global_buffer
      - .address_space:  global
        .offset:         8
        .size:           8
        .value_kind:     global_buffer
      - .address_space:  global
        .offset:         16
        .size:           8
        .value_kind:     global_buffer
      - .offset:         24
        .size:           4
        .value_kind:     by_value
      - .offset:         28
        .size:           4
        .value_kind:     by_value
      - .offset:         32
        .size:           4
        .value_kind:     by_value
      - .offset:         36
        .size:           12
        .value_kind:     by_value
      - .offset:         48
        .size:           12
        .value_kind:     by_value
      - .offset:         60
        .size:           12
        .value_kind:     by_value
      - .offset:         72
        .size:           12
        .value_kind:     by_value
      - .offset:         84
        .size:           12
        .value_kind:     by_value
      - .offset:         96
        .size:           4
        .value_kind:     by_value
      - .offset:         100
        .size:           4
        .value_kind:     by_value
      - .offset:         104
        .size:           4
        .value_kind:     by_value
      - .offset:         108
        .size:           4
        .value_kind:     by_value
      - .offset:         112
        .size:           4
        .value_kind:     by_value
      - .offset:         116
        .size:           4
        .value_kind:     by_value
      - .offset:         120
        .size:           4
        .value_kind:     by_value
      - .offset:         124
        .size:           4
        .value_kind:     by_value
      - .offset:         128
        .size:           4
        .value_kind:     by_value
      - .offset:         132
        .size:           4
        .value_kind:     by_value
      - .offset:         136
        .size:           4
        .value_kind:     by_value
      - .address_space:  global
        .offset:         144
        .size:           8
        .value_kind:     global_buffer
      - .address_space:  global
        .offset:         152
        .size:           8
        .value_kind:     global_buffer
      - .offset:         160
        .size:           4
        .value_kind:     hidden_block_count_x
      - .offset:         164
        .size:           4
        .value_kind:     hidden_block_count_y
      - .offset:         168
        .size:           4
        .value_kind:     hidden_block_count_z
      - .offset:         172
        .size:           2
        .value_kind:     hidden_group_size_x
      - .offset:         174
        .size:           2
        .value_kind:     hidden_group_size_y
      - .offset:         176
        .size:           2
        .value_kind:     hidden_group_size_z
      - .offset:         178
        .size:           2
        .value_kind:     hidden_remainder_x
      - .offset:         180
        .size:           2
        .value_kind:     hidden_remainder_y
      - .offset:         182
        .size:           2
        .value_kind:     hidden_remainder_z
      - .offset:         200
        .size:           8
        .value_kind:     hidden_global_offset_x
      - .offset:         208
        .size:           8
        .value_kind:     hidden_global_offset_y
      - .offset:         216
        .size:           8
        .value_kind:     hidden_global_offset_z
      - .offset:         224
        .size:           2
        .value_kind:     hidden_grid_dims
    .group_segment_fixed_size: 0
    .kernarg_segment_align: 8
    .kernarg_segment_size: 416
    .language:       OpenCL C
    .language_version:
      - 2
      - 0
    .max_flat_workgroup_size: 1024
    .name:           _ZL11k_bin_bcastIXadL_ZL6op_addffEE6__halfS0_S0_JPKS0_S2_EEvPKT0_PKT1_PT2_iii15HIP_vector_typeIjLj3EESC_SC_SC_SC_iiiiiiiiiiiDpT3_
    .private_segment_fixed_size: 0
    .sgpr_count:     46
    .sgpr_spill_count: 0
    .symbol:         _ZL11k_bin_bcastIXadL_ZL6op_addffEE6__halfS0_S0_JPKS0_S2_EEvPKT0_PKT1_PT2_iii15HIP_vector_typeIjLj3EESC_SC_SC_SC_iiiiiiiiiiiDpT3_.kd
    .uniform_work_group_size: 1
    .uses_dynamic_stack: false
    .vgpr_count:     17
    .vgpr_spill_count: 0
    .wavefront_size: 32
    .workgroup_processor_mode: 1
  - .args:
      - .address_space:  global
        .offset:         0
        .size:           8
        .value_kind:     global_buffer
      - .address_space:  global
        .offset:         8
        .size:           8
        .value_kind:     global_buffer
      - .address_space:  global
        .offset:         16
        .size:           8
        .value_kind:     global_buffer
      - .offset:         24
        .size:           12
        .value_kind:     by_value
      - .offset:         36
        .size:           12
        .value_kind:     by_value
      - .offset:         48
        .size:           12
        .value_kind:     by_value
      - .offset:         60
        .size:           4
        .value_kind:     by_value
      - .offset:         64
        .size:           12
        .value_kind:     by_value
      - .offset:         76
        .size:           12
        .value_kind:     by_value
      - .offset:         88
        .size:           12
        .value_kind:     by_value
      - .offset:         100
        .size:           12
        .value_kind:     by_value
      - .offset:         112
        .size:           12
        .value_kind:     by_value
      - .offset:         124
        .size:           12
        .value_kind:     by_value
      - .offset:         136
        .size:           4
        .value_kind:     by_value
      - .offset:         140
        .size:           4
        .value_kind:     by_value
      - .offset:         144
        .size:           4
        .value_kind:     by_value
      - .offset:         148
        .size:           4
        .value_kind:     by_value
      - .offset:         152
        .size:           4
        .value_kind:     by_value
      - .offset:         156
        .size:           4
        .value_kind:     by_value
      - .offset:         160
        .size:           4
        .value_kind:     by_value
      - .offset:         164
        .size:           4
        .value_kind:     by_value
      - .offset:         168
        .size:           4
        .value_kind:     by_value
      - .offset:         172
        .size:           4
        .value_kind:     by_value
      - .offset:         176
        .size:           4
        .value_kind:     by_value
      - .address_space:  global
        .offset:         184
        .size:           8
        .value_kind:     global_buffer
      - .address_space:  global
        .offset:         192
        .size:           8
        .value_kind:     global_buffer
      - .offset:         200
        .size:           4
        .value_kind:     hidden_block_count_x
      - .offset:         204
        .size:           4
        .value_kind:     hidden_block_count_y
      - .offset:         208
        .size:           4
        .value_kind:     hidden_block_count_z
      - .offset:         212
        .size:           2
        .value_kind:     hidden_group_size_x
      - .offset:         214
        .size:           2
        .value_kind:     hidden_group_size_y
      - .offset:         216
        .size:           2
        .value_kind:     hidden_group_size_z
      - .offset:         218
        .size:           2
        .value_kind:     hidden_remainder_x
      - .offset:         220
        .size:           2
        .value_kind:     hidden_remainder_y
      - .offset:         222
        .size:           2
        .value_kind:     hidden_remainder_z
      - .offset:         240
        .size:           8
        .value_kind:     hidden_global_offset_x
      - .offset:         248
        .size:           8
        .value_kind:     hidden_global_offset_y
      - .offset:         256
        .size:           8
        .value_kind:     hidden_global_offset_z
      - .offset:         264
        .size:           2
        .value_kind:     hidden_grid_dims
    .group_segment_fixed_size: 0
    .kernarg_segment_align: 8
    .kernarg_segment_size: 456
    .language:       OpenCL C
    .language_version:
      - 2
      - 0
    .max_flat_workgroup_size: 1024
    .name:           _ZL19k_bin_bcast_unravelIXadL_ZL6op_addffEE6__halffS0_JPKfS2_EEvPKT0_PKT1_PT2_15HIP_vector_typeIjLj3EESC_SC_jSC_SC_SC_SC_SC_SC_iiiiiiiiiiiDpT3_
    .private_segment_fixed_size: 0
    .sgpr_count:     30
    .sgpr_spill_count: 0
    .symbol:         _ZL19k_bin_bcast_unravelIXadL_ZL6op_addffEE6__halffS0_JPKfS2_EEvPKT0_PKT1_PT2_15HIP_vector_typeIjLj3EESC_SC_jSC_SC_SC_SC_SC_SC_iiiiiiiiiiiDpT3_.kd
    .uniform_work_group_size: 1
    .uses_dynamic_stack: false
    .vgpr_count:     9
    .vgpr_spill_count: 0
    .wavefront_size: 32
    .workgroup_processor_mode: 1
  - .args:
      - .address_space:  global
        .offset:         0
        .size:           8
        .value_kind:     global_buffer
      - .address_space:  global
        .offset:         8
        .size:           8
        .value_kind:     global_buffer
      - .address_space:  global
        .offset:         16
        .size:           8
        .value_kind:     global_buffer
      - .offset:         24
        .size:           4
        .value_kind:     by_value
      - .offset:         28
        .size:           4
        .value_kind:     by_value
      - .offset:         32
        .size:           4
        .value_kind:     by_value
      - .offset:         36
        .size:           12
        .value_kind:     by_value
      - .offset:         48
        .size:           12
        .value_kind:     by_value
      - .offset:         60
        .size:           12
        .value_kind:     by_value
      - .offset:         72
        .size:           12
        .value_kind:     by_value
      - .offset:         84
        .size:           12
        .value_kind:     by_value
      - .offset:         96
        .size:           4
        .value_kind:     by_value
      - .offset:         100
        .size:           4
        .value_kind:     by_value
      - .offset:         104
        .size:           4
        .value_kind:     by_value
      - .offset:         108
        .size:           4
        .value_kind:     by_value
      - .offset:         112
        .size:           4
        .value_kind:     by_value
      - .offset:         116
        .size:           4
        .value_kind:     by_value
      - .offset:         120
        .size:           4
        .value_kind:     by_value
      - .offset:         124
        .size:           4
        .value_kind:     by_value
      - .offset:         128
        .size:           4
        .value_kind:     by_value
      - .offset:         132
        .size:           4
        .value_kind:     by_value
      - .offset:         136
        .size:           4
        .value_kind:     by_value
      - .address_space:  global
        .offset:         144
        .size:           8
        .value_kind:     global_buffer
      - .address_space:  global
        .offset:         152
        .size:           8
        .value_kind:     global_buffer
      - .offset:         160
        .size:           4
        .value_kind:     hidden_block_count_x
      - .offset:         164
        .size:           4
        .value_kind:     hidden_block_count_y
      - .offset:         168
        .size:           4
        .value_kind:     hidden_block_count_z
      - .offset:         172
        .size:           2
        .value_kind:     hidden_group_size_x
      - .offset:         174
        .size:           2
        .value_kind:     hidden_group_size_y
      - .offset:         176
        .size:           2
        .value_kind:     hidden_group_size_z
      - .offset:         178
        .size:           2
        .value_kind:     hidden_remainder_x
      - .offset:         180
        .size:           2
        .value_kind:     hidden_remainder_y
      - .offset:         182
        .size:           2
        .value_kind:     hidden_remainder_z
      - .offset:         200
        .size:           8
        .value_kind:     hidden_global_offset_x
      - .offset:         208
        .size:           8
        .value_kind:     hidden_global_offset_y
      - .offset:         216
        .size:           8
        .value_kind:     hidden_global_offset_z
      - .offset:         224
        .size:           2
        .value_kind:     hidden_grid_dims
    .group_segment_fixed_size: 0
    .kernarg_segment_align: 8
    .kernarg_segment_size: 416
    .language:       OpenCL C
    .language_version:
      - 2
      - 0
    .max_flat_workgroup_size: 1024
    .name:           _ZL11k_bin_bcastIXadL_ZL6op_addffEE6__halffS0_JPKfS2_EEvPKT0_PKT1_PT2_iii15HIP_vector_typeIjLj3EESC_SC_SC_SC_iiiiiiiiiiiDpT3_
    .private_segment_fixed_size: 0
    .sgpr_count:     46
    .sgpr_spill_count: 0
    .symbol:         _ZL11k_bin_bcastIXadL_ZL6op_addffEE6__halffS0_JPKfS2_EEvPKT0_PKT1_PT2_iii15HIP_vector_typeIjLj3EESC_SC_SC_SC_iiiiiiiiiiiDpT3_.kd
    .uniform_work_group_size: 1
    .uses_dynamic_stack: false
    .vgpr_count:     17
    .vgpr_spill_count: 0
    .wavefront_size: 32
    .workgroup_processor_mode: 1
  - .args:
      - .address_space:  global
        .offset:         0
        .size:           8
        .value_kind:     global_buffer
      - .address_space:  global
        .offset:         8
        .size:           8
        .value_kind:     global_buffer
      - .address_space:  global
        .offset:         16
        .size:           8
        .value_kind:     global_buffer
      - .offset:         24
        .size:           12
        .value_kind:     by_value
      - .offset:         36
        .size:           12
        .value_kind:     by_value
      - .offset:         48
        .size:           12
        .value_kind:     by_value
      - .offset:         60
        .size:           4
        .value_kind:     by_value
      - .offset:         64
        .size:           12
        .value_kind:     by_value
      - .offset:         76
        .size:           12
        .value_kind:     by_value
      - .offset:         88
        .size:           12
        .value_kind:     by_value
      - .offset:         100
        .size:           12
        .value_kind:     by_value
      - .offset:         112
        .size:           12
        .value_kind:     by_value
      - .offset:         124
        .size:           12
        .value_kind:     by_value
      - .offset:         136
        .size:           4
        .value_kind:     by_value
      - .offset:         140
        .size:           4
        .value_kind:     by_value
      - .offset:         144
        .size:           4
        .value_kind:     by_value
      - .offset:         148
        .size:           4
        .value_kind:     by_value
      - .offset:         152
        .size:           4
        .value_kind:     by_value
      - .offset:         156
        .size:           4
        .value_kind:     by_value
      - .offset:         160
        .size:           4
        .value_kind:     by_value
      - .offset:         164
        .size:           4
        .value_kind:     by_value
      - .offset:         168
        .size:           4
        .value_kind:     by_value
      - .offset:         172
        .size:           4
        .value_kind:     by_value
      - .offset:         176
        .size:           4
        .value_kind:     by_value
      - .address_space:  global
        .offset:         184
        .size:           8
        .value_kind:     global_buffer
      - .address_space:  global
        .offset:         192
        .size:           8
        .value_kind:     global_buffer
      - .offset:         200
        .size:           4
        .value_kind:     hidden_block_count_x
      - .offset:         204
        .size:           4
        .value_kind:     hidden_block_count_y
      - .offset:         208
        .size:           4
        .value_kind:     hidden_block_count_z
      - .offset:         212
        .size:           2
        .value_kind:     hidden_group_size_x
      - .offset:         214
        .size:           2
        .value_kind:     hidden_group_size_y
      - .offset:         216
        .size:           2
        .value_kind:     hidden_group_size_z
      - .offset:         218
        .size:           2
        .value_kind:     hidden_remainder_x
      - .offset:         220
        .size:           2
        .value_kind:     hidden_remainder_y
      - .offset:         222
        .size:           2
        .value_kind:     hidden_remainder_z
      - .offset:         240
        .size:           8
        .value_kind:     hidden_global_offset_x
      - .offset:         248
        .size:           8
        .value_kind:     hidden_global_offset_y
      - .offset:         256
        .size:           8
        .value_kind:     hidden_global_offset_z
      - .offset:         264
        .size:           2
        .value_kind:     hidden_grid_dims
    .group_segment_fixed_size: 0
    .kernarg_segment_align: 8
    .kernarg_segment_size: 456
    .language:       OpenCL C
    .language_version:
      - 2
      - 0
    .max_flat_workgroup_size: 1024
    .name:           _ZL19k_bin_bcast_unravelIXadL_ZL6op_addffEE6__halfffJPKfS2_EEvPKT0_PKT1_PT2_15HIP_vector_typeIjLj3EESC_SC_jSC_SC_SC_SC_SC_SC_iiiiiiiiiiiDpT3_
    .private_segment_fixed_size: 0
    .sgpr_count:     30
    .sgpr_spill_count: 0
    .symbol:         _ZL19k_bin_bcast_unravelIXadL_ZL6op_addffEE6__halfffJPKfS2_EEvPKT0_PKT1_PT2_15HIP_vector_typeIjLj3EESC_SC_jSC_SC_SC_SC_SC_SC_iiiiiiiiiiiDpT3_.kd
    .uniform_work_group_size: 1
    .uses_dynamic_stack: false
    .vgpr_count:     9
    .vgpr_spill_count: 0
    .wavefront_size: 32
    .workgroup_processor_mode: 1
  - .args:
      - .address_space:  global
        .offset:         0
        .size:           8
        .value_kind:     global_buffer
      - .address_space:  global
        .offset:         8
        .size:           8
        .value_kind:     global_buffer
      - .address_space:  global
        .offset:         16
        .size:           8
        .value_kind:     global_buffer
      - .offset:         24
        .size:           4
        .value_kind:     by_value
      - .offset:         28
        .size:           4
        .value_kind:     by_value
      - .offset:         32
        .size:           4
        .value_kind:     by_value
      - .offset:         36
        .size:           12
        .value_kind:     by_value
      - .offset:         48
        .size:           12
        .value_kind:     by_value
      - .offset:         60
        .size:           12
        .value_kind:     by_value
      - .offset:         72
        .size:           12
        .value_kind:     by_value
      - .offset:         84
        .size:           12
        .value_kind:     by_value
      - .offset:         96
        .size:           4
        .value_kind:     by_value
      - .offset:         100
        .size:           4
        .value_kind:     by_value
      - .offset:         104
        .size:           4
        .value_kind:     by_value
      - .offset:         108
        .size:           4
        .value_kind:     by_value
      - .offset:         112
        .size:           4
        .value_kind:     by_value
      - .offset:         116
        .size:           4
        .value_kind:     by_value
      - .offset:         120
        .size:           4
        .value_kind:     by_value
      - .offset:         124
        .size:           4
        .value_kind:     by_value
      - .offset:         128
        .size:           4
        .value_kind:     by_value
      - .offset:         132
        .size:           4
        .value_kind:     by_value
      - .offset:         136
        .size:           4
        .value_kind:     by_value
      - .address_space:  global
        .offset:         144
        .size:           8
        .value_kind:     global_buffer
      - .address_space:  global
        .offset:         152
        .size:           8
        .value_kind:     global_buffer
      - .offset:         160
        .size:           4
        .value_kind:     hidden_block_count_x
      - .offset:         164
        .size:           4
        .value_kind:     hidden_block_count_y
      - .offset:         168
        .size:           4
        .value_kind:     hidden_block_count_z
      - .offset:         172
        .size:           2
        .value_kind:     hidden_group_size_x
      - .offset:         174
        .size:           2
        .value_kind:     hidden_group_size_y
      - .offset:         176
        .size:           2
        .value_kind:     hidden_group_size_z
      - .offset:         178
        .size:           2
        .value_kind:     hidden_remainder_x
      - .offset:         180
        .size:           2
        .value_kind:     hidden_remainder_y
      - .offset:         182
        .size:           2
        .value_kind:     hidden_remainder_z
      - .offset:         200
        .size:           8
        .value_kind:     hidden_global_offset_x
      - .offset:         208
        .size:           8
        .value_kind:     hidden_global_offset_y
      - .offset:         216
        .size:           8
        .value_kind:     hidden_global_offset_z
      - .offset:         224
        .size:           2
        .value_kind:     hidden_grid_dims
    .group_segment_fixed_size: 0
    .kernarg_segment_align: 8
    .kernarg_segment_size: 416
    .language:       OpenCL C
    .language_version:
      - 2
      - 0
    .max_flat_workgroup_size: 1024
    .name:           _ZL11k_bin_bcastIXadL_ZL6op_addffEE6__halfffJPKfS2_EEvPKT0_PKT1_PT2_iii15HIP_vector_typeIjLj3EESC_SC_SC_SC_iiiiiiiiiiiDpT3_
    .private_segment_fixed_size: 0
    .sgpr_count:     46
    .sgpr_spill_count: 0
    .symbol:         _ZL11k_bin_bcastIXadL_ZL6op_addffEE6__halfffJPKfS2_EEvPKT0_PKT1_PT2_iii15HIP_vector_typeIjLj3EESC_SC_SC_SC_iiiiiiiiiiiDpT3_.kd
    .uniform_work_group_size: 1
    .uses_dynamic_stack: false
    .vgpr_count:     17
    .vgpr_spill_count: 0
    .wavefront_size: 32
    .workgroup_processor_mode: 1
  - .args:
      - .address_space:  global
        .offset:         0
        .size:           8
        .value_kind:     global_buffer
      - .address_space:  global
        .offset:         8
        .size:           8
        .value_kind:     global_buffer
      - .address_space:  global
        .offset:         16
        .size:           8
        .value_kind:     global_buffer
      - .offset:         24
        .size:           12
        .value_kind:     by_value
      - .offset:         36
        .size:           12
        .value_kind:     by_value
      - .offset:         48
        .size:           12
        .value_kind:     by_value
      - .offset:         60
        .size:           4
        .value_kind:     by_value
      - .offset:         64
        .size:           12
        .value_kind:     by_value
      - .offset:         76
        .size:           12
        .value_kind:     by_value
      - .offset:         88
        .size:           12
        .value_kind:     by_value
      - .offset:         100
        .size:           12
        .value_kind:     by_value
      - .offset:         112
        .size:           12
        .value_kind:     by_value
      - .offset:         124
        .size:           12
        .value_kind:     by_value
      - .offset:         136
        .size:           4
        .value_kind:     by_value
      - .offset:         140
        .size:           4
        .value_kind:     by_value
      - .offset:         144
        .size:           4
        .value_kind:     by_value
      - .offset:         148
        .size:           4
        .value_kind:     by_value
      - .offset:         152
        .size:           4
        .value_kind:     by_value
      - .offset:         156
        .size:           4
        .value_kind:     by_value
      - .offset:         160
        .size:           4
        .value_kind:     by_value
      - .offset:         164
        .size:           4
        .value_kind:     by_value
      - .offset:         168
        .size:           4
        .value_kind:     by_value
      - .offset:         172
        .size:           4
        .value_kind:     by_value
      - .offset:         176
        .size:           4
        .value_kind:     by_value
      - .address_space:  global
        .offset:         184
        .size:           8
        .value_kind:     global_buffer
      - .address_space:  global
        .offset:         192
        .size:           8
        .value_kind:     global_buffer
      - .address_space:  global
        .offset:         200
        .size:           8
        .value_kind:     global_buffer
      - .offset:         208
        .size:           4
        .value_kind:     hidden_block_count_x
      - .offset:         212
        .size:           4
        .value_kind:     hidden_block_count_y
      - .offset:         216
        .size:           4
        .value_kind:     hidden_block_count_z
      - .offset:         220
        .size:           2
        .value_kind:     hidden_group_size_x
      - .offset:         222
        .size:           2
        .value_kind:     hidden_group_size_y
      - .offset:         224
        .size:           2
        .value_kind:     hidden_group_size_z
      - .offset:         226
        .size:           2
        .value_kind:     hidden_remainder_x
      - .offset:         228
        .size:           2
        .value_kind:     hidden_remainder_y
      - .offset:         230
        .size:           2
        .value_kind:     hidden_remainder_z
      - .offset:         248
        .size:           8
        .value_kind:     hidden_global_offset_x
      - .offset:         256
        .size:           8
        .value_kind:     hidden_global_offset_y
      - .offset:         264
        .size:           8
        .value_kind:     hidden_global_offset_z
      - .offset:         272
        .size:           2
        .value_kind:     hidden_grid_dims
    .group_segment_fixed_size: 0
    .kernarg_segment_align: 8
    .kernarg_segment_size: 464
    .language:       OpenCL C
    .language_version:
      - 2
      - 0
    .max_flat_workgroup_size: 1024
    .name:           _ZL19k_bin_bcast_unravelIXadL_ZL6op_addffEEfffJPKfS1_S1_EEvPKT0_PKT1_PT2_15HIP_vector_typeIjLj3EESB_SB_jSB_SB_SB_SB_SB_SB_iiiiiiiiiiiDpT3_
    .private_segment_fixed_size: 0
    .sgpr_count:     30
    .sgpr_spill_count: 0
    .symbol:         _ZL19k_bin_bcast_unravelIXadL_ZL6op_addffEEfffJPKfS1_S1_EEvPKT0_PKT1_PT2_15HIP_vector_typeIjLj3EESB_SB_jSB_SB_SB_SB_SB_SB_iiiiiiiiiiiDpT3_.kd
    .uniform_work_group_size: 1
    .uses_dynamic_stack: false
    .vgpr_count:     11
    .vgpr_spill_count: 0
    .wavefront_size: 32
    .workgroup_processor_mode: 1
  - .args:
      - .address_space:  global
        .offset:         0
        .size:           8
        .value_kind:     global_buffer
      - .address_space:  global
        .offset:         8
        .size:           8
        .value_kind:     global_buffer
      - .address_space:  global
        .offset:         16
        .size:           8
        .value_kind:     global_buffer
      - .offset:         24
        .size:           4
        .value_kind:     by_value
      - .offset:         28
        .size:           4
        .value_kind:     by_value
      - .offset:         32
        .size:           4
        .value_kind:     by_value
      - .offset:         36
        .size:           12
        .value_kind:     by_value
      - .offset:         48
        .size:           12
        .value_kind:     by_value
      - .offset:         60
        .size:           12
        .value_kind:     by_value
      - .offset:         72
        .size:           12
        .value_kind:     by_value
      - .offset:         84
        .size:           12
        .value_kind:     by_value
      - .offset:         96
        .size:           4
        .value_kind:     by_value
      - .offset:         100
        .size:           4
        .value_kind:     by_value
      - .offset:         104
        .size:           4
        .value_kind:     by_value
      - .offset:         108
        .size:           4
        .value_kind:     by_value
      - .offset:         112
        .size:           4
        .value_kind:     by_value
      - .offset:         116
        .size:           4
        .value_kind:     by_value
      - .offset:         120
        .size:           4
        .value_kind:     by_value
      - .offset:         124
        .size:           4
        .value_kind:     by_value
      - .offset:         128
        .size:           4
        .value_kind:     by_value
      - .offset:         132
        .size:           4
        .value_kind:     by_value
      - .offset:         136
        .size:           4
        .value_kind:     by_value
      - .address_space:  global
        .offset:         144
        .size:           8
        .value_kind:     global_buffer
      - .address_space:  global
        .offset:         152
        .size:           8
        .value_kind:     global_buffer
      - .address_space:  global
        .offset:         160
        .size:           8
        .value_kind:     global_buffer
      - .offset:         168
        .size:           4
        .value_kind:     hidden_block_count_x
      - .offset:         172
        .size:           4
        .value_kind:     hidden_block_count_y
      - .offset:         176
        .size:           4
        .value_kind:     hidden_block_count_z
      - .offset:         180
        .size:           2
        .value_kind:     hidden_group_size_x
      - .offset:         182
        .size:           2
        .value_kind:     hidden_group_size_y
      - .offset:         184
        .size:           2
        .value_kind:     hidden_group_size_z
      - .offset:         186
        .size:           2
        .value_kind:     hidden_remainder_x
      - .offset:         188
        .size:           2
        .value_kind:     hidden_remainder_y
      - .offset:         190
        .size:           2
        .value_kind:     hidden_remainder_z
      - .offset:         208
        .size:           8
        .value_kind:     hidden_global_offset_x
      - .offset:         216
        .size:           8
        .value_kind:     hidden_global_offset_y
      - .offset:         224
        .size:           8
        .value_kind:     hidden_global_offset_z
      - .offset:         232
        .size:           2
        .value_kind:     hidden_grid_dims
    .group_segment_fixed_size: 0
    .kernarg_segment_align: 8
    .kernarg_segment_size: 424
    .language:       OpenCL C
    .language_version:
      - 2
      - 0
    .max_flat_workgroup_size: 1024
    .name:           _ZL11k_bin_bcastIXadL_ZL6op_addffEEfffJPKfS1_S1_EEvPKT0_PKT1_PT2_iii15HIP_vector_typeIjLj3EESB_SB_SB_SB_iiiiiiiiiiiDpT3_
    .private_segment_fixed_size: 0
    .sgpr_count:     46
    .sgpr_spill_count: 0
    .symbol:         _ZL11k_bin_bcastIXadL_ZL6op_addffEEfffJPKfS1_S1_EEvPKT0_PKT1_PT2_iii15HIP_vector_typeIjLj3EESB_SB_SB_SB_iiiiiiiiiiiDpT3_.kd
    .uniform_work_group_size: 1
    .uses_dynamic_stack: false
    .vgpr_count:     17
    .vgpr_spill_count: 0
    .wavefront_size: 32
    .workgroup_processor_mode: 1
  - .args:
      - .address_space:  global
        .offset:         0
        .size:           8
        .value_kind:     global_buffer
      - .address_space:  global
        .offset:         8
        .size:           8
        .value_kind:     global_buffer
      - .address_space:  global
        .offset:         16
        .size:           8
        .value_kind:     global_buffer
      - .offset:         24
        .size:           12
        .value_kind:     by_value
      - .offset:         36
        .size:           12
        .value_kind:     by_value
      - .offset:         48
        .size:           12
        .value_kind:     by_value
      - .offset:         60
        .size:           4
        .value_kind:     by_value
      - .offset:         64
        .size:           12
        .value_kind:     by_value
      - .offset:         76
        .size:           12
        .value_kind:     by_value
      - .offset:         88
        .size:           12
        .value_kind:     by_value
      - .offset:         100
        .size:           12
        .value_kind:     by_value
      - .offset:         112
        .size:           12
        .value_kind:     by_value
      - .offset:         124
        .size:           12
        .value_kind:     by_value
      - .offset:         136
        .size:           4
        .value_kind:     by_value
      - .offset:         140
        .size:           4
        .value_kind:     by_value
      - .offset:         144
        .size:           4
        .value_kind:     by_value
      - .offset:         148
        .size:           4
        .value_kind:     by_value
      - .offset:         152
        .size:           4
        .value_kind:     by_value
      - .offset:         156
        .size:           4
        .value_kind:     by_value
      - .offset:         160
        .size:           4
        .value_kind:     by_value
      - .offset:         164
        .size:           4
        .value_kind:     by_value
      - .offset:         168
        .size:           4
        .value_kind:     by_value
      - .offset:         172
        .size:           4
        .value_kind:     by_value
      - .offset:         176
        .size:           4
        .value_kind:     by_value
      - .address_space:  global
        .offset:         184
        .size:           8
        .value_kind:     global_buffer
      - .address_space:  global
        .offset:         192
        .size:           8
        .value_kind:     global_buffer
      - .address_space:  global
        .offset:         200
        .size:           8
        .value_kind:     global_buffer
      - .offset:         208
        .size:           4
        .value_kind:     hidden_block_count_x
      - .offset:         212
        .size:           4
        .value_kind:     hidden_block_count_y
      - .offset:         216
        .size:           4
        .value_kind:     hidden_block_count_z
      - .offset:         220
        .size:           2
        .value_kind:     hidden_group_size_x
      - .offset:         222
        .size:           2
        .value_kind:     hidden_group_size_y
      - .offset:         224
        .size:           2
        .value_kind:     hidden_group_size_z
      - .offset:         226
        .size:           2
        .value_kind:     hidden_remainder_x
      - .offset:         228
        .size:           2
        .value_kind:     hidden_remainder_y
      - .offset:         230
        .size:           2
        .value_kind:     hidden_remainder_z
      - .offset:         248
        .size:           8
        .value_kind:     hidden_global_offset_x
      - .offset:         256
        .size:           8
        .value_kind:     hidden_global_offset_y
      - .offset:         264
        .size:           8
        .value_kind:     hidden_global_offset_z
      - .offset:         272
        .size:           2
        .value_kind:     hidden_grid_dims
    .group_segment_fixed_size: 0
    .kernarg_segment_align: 8
    .kernarg_segment_size: 464
    .language:       OpenCL C
    .language_version:
      - 2
      - 0
    .max_flat_workgroup_size: 1024
    .name:           _ZL19k_bin_bcast_unravelIXadL_ZL6op_addffEE6__halfS0_S0_JPKS0_S2_S2_EEvPKT0_PKT1_PT2_15HIP_vector_typeIjLj3EESC_SC_jSC_SC_SC_SC_SC_SC_iiiiiiiiiiiDpT3_
    .private_segment_fixed_size: 0
    .sgpr_count:     30
    .sgpr_spill_count: 0
    .symbol:         _ZL19k_bin_bcast_unravelIXadL_ZL6op_addffEE6__halfS0_S0_JPKS0_S2_S2_EEvPKT0_PKT1_PT2_15HIP_vector_typeIjLj3EESC_SC_jSC_SC_SC_SC_SC_SC_iiiiiiiiiiiDpT3_.kd
    .uniform_work_group_size: 1
    .uses_dynamic_stack: false
    .vgpr_count:     11
    .vgpr_spill_count: 0
    .wavefront_size: 32
    .workgroup_processor_mode: 1
  - .args:
      - .address_space:  global
        .offset:         0
        .size:           8
        .value_kind:     global_buffer
      - .address_space:  global
        .offset:         8
        .size:           8
        .value_kind:     global_buffer
      - .address_space:  global
        .offset:         16
        .size:           8
        .value_kind:     global_buffer
      - .offset:         24
        .size:           4
        .value_kind:     by_value
      - .offset:         28
        .size:           4
        .value_kind:     by_value
      - .offset:         32
        .size:           4
        .value_kind:     by_value
      - .offset:         36
        .size:           12
        .value_kind:     by_value
      - .offset:         48
        .size:           12
        .value_kind:     by_value
      - .offset:         60
        .size:           12
        .value_kind:     by_value
      - .offset:         72
        .size:           12
        .value_kind:     by_value
      - .offset:         84
        .size:           12
        .value_kind:     by_value
      - .offset:         96
        .size:           4
        .value_kind:     by_value
      - .offset:         100
        .size:           4
        .value_kind:     by_value
      - .offset:         104
        .size:           4
        .value_kind:     by_value
      - .offset:         108
        .size:           4
        .value_kind:     by_value
      - .offset:         112
        .size:           4
        .value_kind:     by_value
      - .offset:         116
        .size:           4
        .value_kind:     by_value
      - .offset:         120
        .size:           4
        .value_kind:     by_value
      - .offset:         124
        .size:           4
        .value_kind:     by_value
      - .offset:         128
        .size:           4
        .value_kind:     by_value
      - .offset:         132
        .size:           4
        .value_kind:     by_value
      - .offset:         136
        .size:           4
        .value_kind:     by_value
      - .address_space:  global
        .offset:         144
        .size:           8
        .value_kind:     global_buffer
      - .address_space:  global
        .offset:         152
        .size:           8
        .value_kind:     global_buffer
      - .address_space:  global
        .offset:         160
        .size:           8
        .value_kind:     global_buffer
      - .offset:         168
        .size:           4
        .value_kind:     hidden_block_count_x
      - .offset:         172
        .size:           4
        .value_kind:     hidden_block_count_y
      - .offset:         176
        .size:           4
        .value_kind:     hidden_block_count_z
      - .offset:         180
        .size:           2
        .value_kind:     hidden_group_size_x
      - .offset:         182
        .size:           2
        .value_kind:     hidden_group_size_y
      - .offset:         184
        .size:           2
        .value_kind:     hidden_group_size_z
      - .offset:         186
        .size:           2
        .value_kind:     hidden_remainder_x
      - .offset:         188
        .size:           2
        .value_kind:     hidden_remainder_y
      - .offset:         190
        .size:           2
        .value_kind:     hidden_remainder_z
      - .offset:         208
        .size:           8
        .value_kind:     hidden_global_offset_x
      - .offset:         216
        .size:           8
        .value_kind:     hidden_global_offset_y
      - .offset:         224
        .size:           8
        .value_kind:     hidden_global_offset_z
      - .offset:         232
        .size:           2
        .value_kind:     hidden_grid_dims
    .group_segment_fixed_size: 0
    .kernarg_segment_align: 8
    .kernarg_segment_size: 424
    .language:       OpenCL C
    .language_version:
      - 2
      - 0
    .max_flat_workgroup_size: 1024
    .name:           _ZL11k_bin_bcastIXadL_ZL6op_addffEE6__halfS0_S0_JPKS0_S2_S2_EEvPKT0_PKT1_PT2_iii15HIP_vector_typeIjLj3EESC_SC_SC_SC_iiiiiiiiiiiDpT3_
    .private_segment_fixed_size: 0
    .sgpr_count:     46
    .sgpr_spill_count: 0
    .symbol:         _ZL11k_bin_bcastIXadL_ZL6op_addffEE6__halfS0_S0_JPKS0_S2_S2_EEvPKT0_PKT1_PT2_iii15HIP_vector_typeIjLj3EESC_SC_SC_SC_iiiiiiiiiiiDpT3_.kd
    .uniform_work_group_size: 1
    .uses_dynamic_stack: false
    .vgpr_count:     17
    .vgpr_spill_count: 0
    .wavefront_size: 32
    .workgroup_processor_mode: 1
  - .args:
      - .address_space:  global
        .offset:         0
        .size:           8
        .value_kind:     global_buffer
      - .address_space:  global
        .offset:         8
        .size:           8
        .value_kind:     global_buffer
      - .address_space:  global
        .offset:         16
        .size:           8
        .value_kind:     global_buffer
      - .offset:         24
        .size:           12
        .value_kind:     by_value
      - .offset:         36
        .size:           12
        .value_kind:     by_value
      - .offset:         48
        .size:           12
        .value_kind:     by_value
      - .offset:         60
        .size:           4
        .value_kind:     by_value
      - .offset:         64
        .size:           12
        .value_kind:     by_value
      - .offset:         76
        .size:           12
        .value_kind:     by_value
      - .offset:         88
        .size:           12
        .value_kind:     by_value
      - .offset:         100
        .size:           12
        .value_kind:     by_value
      - .offset:         112
        .size:           12
        .value_kind:     by_value
      - .offset:         124
        .size:           12
        .value_kind:     by_value
      - .offset:         136
        .size:           4
        .value_kind:     by_value
      - .offset:         140
        .size:           4
        .value_kind:     by_value
      - .offset:         144
        .size:           4
        .value_kind:     by_value
      - .offset:         148
        .size:           4
        .value_kind:     by_value
      - .offset:         152
        .size:           4
        .value_kind:     by_value
      - .offset:         156
        .size:           4
        .value_kind:     by_value
      - .offset:         160
        .size:           4
        .value_kind:     by_value
      - .offset:         164
        .size:           4
        .value_kind:     by_value
      - .offset:         168
        .size:           4
        .value_kind:     by_value
      - .offset:         172
        .size:           4
        .value_kind:     by_value
      - .offset:         176
        .size:           4
        .value_kind:     by_value
      - .address_space:  global
        .offset:         184
        .size:           8
        .value_kind:     global_buffer
      - .address_space:  global
        .offset:         192
        .size:           8
        .value_kind:     global_buffer
      - .address_space:  global
        .offset:         200
        .size:           8
        .value_kind:     global_buffer
      - .offset:         208
        .size:           4
        .value_kind:     hidden_block_count_x
      - .offset:         212
        .size:           4
        .value_kind:     hidden_block_count_y
      - .offset:         216
        .size:           4
        .value_kind:     hidden_block_count_z
      - .offset:         220
        .size:           2
        .value_kind:     hidden_group_size_x
      - .offset:         222
        .size:           2
        .value_kind:     hidden_group_size_y
      - .offset:         224
        .size:           2
        .value_kind:     hidden_group_size_z
      - .offset:         226
        .size:           2
        .value_kind:     hidden_remainder_x
      - .offset:         228
        .size:           2
        .value_kind:     hidden_remainder_y
      - .offset:         230
        .size:           2
        .value_kind:     hidden_remainder_z
      - .offset:         248
        .size:           8
        .value_kind:     hidden_global_offset_x
      - .offset:         256
        .size:           8
        .value_kind:     hidden_global_offset_y
      - .offset:         264
        .size:           8
        .value_kind:     hidden_global_offset_z
      - .offset:         272
        .size:           2
        .value_kind:     hidden_grid_dims
    .group_segment_fixed_size: 0
    .kernarg_segment_align: 8
    .kernarg_segment_size: 464
    .language:       OpenCL C
    .language_version:
      - 2
      - 0
    .max_flat_workgroup_size: 1024
    .name:           _ZL19k_bin_bcast_unravelIXadL_ZL6op_addffEE6__halffS0_JPKfS2_S2_EEvPKT0_PKT1_PT2_15HIP_vector_typeIjLj3EESC_SC_jSC_SC_SC_SC_SC_SC_iiiiiiiiiiiDpT3_
    .private_segment_fixed_size: 0
    .sgpr_count:     30
    .sgpr_spill_count: 0
    .symbol:         _ZL19k_bin_bcast_unravelIXadL_ZL6op_addffEE6__halffS0_JPKfS2_S2_EEvPKT0_PKT1_PT2_15HIP_vector_typeIjLj3EESC_SC_jSC_SC_SC_SC_SC_SC_iiiiiiiiiiiDpT3_.kd
    .uniform_work_group_size: 1
    .uses_dynamic_stack: false
    .vgpr_count:     11
    .vgpr_spill_count: 0
    .wavefront_size: 32
    .workgroup_processor_mode: 1
  - .args:
      - .address_space:  global
        .offset:         0
        .size:           8
        .value_kind:     global_buffer
      - .address_space:  global
        .offset:         8
        .size:           8
        .value_kind:     global_buffer
      - .address_space:  global
        .offset:         16
        .size:           8
        .value_kind:     global_buffer
      - .offset:         24
        .size:           4
        .value_kind:     by_value
      - .offset:         28
        .size:           4
        .value_kind:     by_value
      - .offset:         32
        .size:           4
        .value_kind:     by_value
      - .offset:         36
        .size:           12
        .value_kind:     by_value
      - .offset:         48
        .size:           12
        .value_kind:     by_value
      - .offset:         60
        .size:           12
        .value_kind:     by_value
      - .offset:         72
        .size:           12
        .value_kind:     by_value
      - .offset:         84
        .size:           12
        .value_kind:     by_value
      - .offset:         96
        .size:           4
        .value_kind:     by_value
      - .offset:         100
        .size:           4
        .value_kind:     by_value
      - .offset:         104
        .size:           4
        .value_kind:     by_value
      - .offset:         108
        .size:           4
        .value_kind:     by_value
      - .offset:         112
        .size:           4
        .value_kind:     by_value
      - .offset:         116
        .size:           4
        .value_kind:     by_value
      - .offset:         120
        .size:           4
        .value_kind:     by_value
      - .offset:         124
        .size:           4
        .value_kind:     by_value
      - .offset:         128
        .size:           4
        .value_kind:     by_value
      - .offset:         132
        .size:           4
        .value_kind:     by_value
      - .offset:         136
        .size:           4
        .value_kind:     by_value
      - .address_space:  global
        .offset:         144
        .size:           8
        .value_kind:     global_buffer
      - .address_space:  global
        .offset:         152
        .size:           8
        .value_kind:     global_buffer
      - .address_space:  global
        .offset:         160
        .size:           8
        .value_kind:     global_buffer
      - .offset:         168
        .size:           4
        .value_kind:     hidden_block_count_x
      - .offset:         172
        .size:           4
        .value_kind:     hidden_block_count_y
      - .offset:         176
        .size:           4
        .value_kind:     hidden_block_count_z
      - .offset:         180
        .size:           2
        .value_kind:     hidden_group_size_x
      - .offset:         182
        .size:           2
        .value_kind:     hidden_group_size_y
      - .offset:         184
        .size:           2
        .value_kind:     hidden_group_size_z
      - .offset:         186
        .size:           2
        .value_kind:     hidden_remainder_x
      - .offset:         188
        .size:           2
        .value_kind:     hidden_remainder_y
      - .offset:         190
        .size:           2
        .value_kind:     hidden_remainder_z
      - .offset:         208
        .size:           8
        .value_kind:     hidden_global_offset_x
      - .offset:         216
        .size:           8
        .value_kind:     hidden_global_offset_y
      - .offset:         224
        .size:           8
        .value_kind:     hidden_global_offset_z
      - .offset:         232
        .size:           2
        .value_kind:     hidden_grid_dims
    .group_segment_fixed_size: 0
    .kernarg_segment_align: 8
    .kernarg_segment_size: 424
    .language:       OpenCL C
    .language_version:
      - 2
      - 0
    .max_flat_workgroup_size: 1024
    .name:           _ZL11k_bin_bcastIXadL_ZL6op_addffEE6__halffS0_JPKfS2_S2_EEvPKT0_PKT1_PT2_iii15HIP_vector_typeIjLj3EESC_SC_SC_SC_iiiiiiiiiiiDpT3_
    .private_segment_fixed_size: 0
    .sgpr_count:     46
    .sgpr_spill_count: 0
    .symbol:         _ZL11k_bin_bcastIXadL_ZL6op_addffEE6__halffS0_JPKfS2_S2_EEvPKT0_PKT1_PT2_iii15HIP_vector_typeIjLj3EESC_SC_SC_SC_iiiiiiiiiiiDpT3_.kd
    .uniform_work_group_size: 1
    .uses_dynamic_stack: false
    .vgpr_count:     17
    .vgpr_spill_count: 0
    .wavefront_size: 32
    .workgroup_processor_mode: 1
  - .args:
      - .address_space:  global
        .offset:         0
        .size:           8
        .value_kind:     global_buffer
      - .address_space:  global
        .offset:         8
        .size:           8
        .value_kind:     global_buffer
      - .address_space:  global
        .offset:         16
        .size:           8
        .value_kind:     global_buffer
      - .offset:         24
        .size:           12
        .value_kind:     by_value
      - .offset:         36
        .size:           12
        .value_kind:     by_value
      - .offset:         48
        .size:           12
        .value_kind:     by_value
      - .offset:         60
        .size:           4
        .value_kind:     by_value
      - .offset:         64
        .size:           12
        .value_kind:     by_value
      - .offset:         76
        .size:           12
        .value_kind:     by_value
      - .offset:         88
        .size:           12
        .value_kind:     by_value
      - .offset:         100
        .size:           12
        .value_kind:     by_value
      - .offset:         112
        .size:           12
        .value_kind:     by_value
      - .offset:         124
        .size:           12
        .value_kind:     by_value
      - .offset:         136
        .size:           4
        .value_kind:     by_value
      - .offset:         140
        .size:           4
        .value_kind:     by_value
      - .offset:         144
        .size:           4
        .value_kind:     by_value
      - .offset:         148
        .size:           4
        .value_kind:     by_value
      - .offset:         152
        .size:           4
        .value_kind:     by_value
      - .offset:         156
        .size:           4
        .value_kind:     by_value
      - .offset:         160
        .size:           4
        .value_kind:     by_value
      - .offset:         164
        .size:           4
        .value_kind:     by_value
      - .offset:         168
        .size:           4
        .value_kind:     by_value
      - .offset:         172
        .size:           4
        .value_kind:     by_value
      - .offset:         176
        .size:           4
        .value_kind:     by_value
      - .address_space:  global
        .offset:         184
        .size:           8
        .value_kind:     global_buffer
      - .address_space:  global
        .offset:         192
        .size:           8
        .value_kind:     global_buffer
      - .address_space:  global
        .offset:         200
        .size:           8
        .value_kind:     global_buffer
      - .offset:         208
        .size:           4
        .value_kind:     hidden_block_count_x
      - .offset:         212
        .size:           4
        .value_kind:     hidden_block_count_y
      - .offset:         216
        .size:           4
        .value_kind:     hidden_block_count_z
      - .offset:         220
        .size:           2
        .value_kind:     hidden_group_size_x
      - .offset:         222
        .size:           2
        .value_kind:     hidden_group_size_y
      - .offset:         224
        .size:           2
        .value_kind:     hidden_group_size_z
      - .offset:         226
        .size:           2
        .value_kind:     hidden_remainder_x
      - .offset:         228
        .size:           2
        .value_kind:     hidden_remainder_y
      - .offset:         230
        .size:           2
        .value_kind:     hidden_remainder_z
      - .offset:         248
        .size:           8
        .value_kind:     hidden_global_offset_x
      - .offset:         256
        .size:           8
        .value_kind:     hidden_global_offset_y
      - .offset:         264
        .size:           8
        .value_kind:     hidden_global_offset_z
      - .offset:         272
        .size:           2
        .value_kind:     hidden_grid_dims
    .group_segment_fixed_size: 0
    .kernarg_segment_align: 8
    .kernarg_segment_size: 464
    .language:       OpenCL C
    .language_version:
      - 2
      - 0
    .max_flat_workgroup_size: 1024
    .name:           _ZL19k_bin_bcast_unravelIXadL_ZL6op_addffEE6__halfffJPKfS2_S2_EEvPKT0_PKT1_PT2_15HIP_vector_typeIjLj3EESC_SC_jSC_SC_SC_SC_SC_SC_iiiiiiiiiiiDpT3_
    .private_segment_fixed_size: 0
    .sgpr_count:     30
    .sgpr_spill_count: 0
    .symbol:         _ZL19k_bin_bcast_unravelIXadL_ZL6op_addffEE6__halfffJPKfS2_S2_EEvPKT0_PKT1_PT2_15HIP_vector_typeIjLj3EESC_SC_jSC_SC_SC_SC_SC_SC_iiiiiiiiiiiDpT3_.kd
    .uniform_work_group_size: 1
    .uses_dynamic_stack: false
    .vgpr_count:     11
    .vgpr_spill_count: 0
    .wavefront_size: 32
    .workgroup_processor_mode: 1
  - .args:
      - .address_space:  global
        .offset:         0
        .size:           8
        .value_kind:     global_buffer
      - .address_space:  global
        .offset:         8
        .size:           8
        .value_kind:     global_buffer
      - .address_space:  global
        .offset:         16
        .size:           8
        .value_kind:     global_buffer
      - .offset:         24
        .size:           4
        .value_kind:     by_value
      - .offset:         28
        .size:           4
        .value_kind:     by_value
      - .offset:         32
        .size:           4
        .value_kind:     by_value
      - .offset:         36
        .size:           12
        .value_kind:     by_value
      - .offset:         48
        .size:           12
        .value_kind:     by_value
      - .offset:         60
        .size:           12
        .value_kind:     by_value
      - .offset:         72
        .size:           12
        .value_kind:     by_value
      - .offset:         84
        .size:           12
        .value_kind:     by_value
      - .offset:         96
        .size:           4
        .value_kind:     by_value
      - .offset:         100
        .size:           4
        .value_kind:     by_value
      - .offset:         104
        .size:           4
        .value_kind:     by_value
      - .offset:         108
        .size:           4
        .value_kind:     by_value
      - .offset:         112
        .size:           4
        .value_kind:     by_value
      - .offset:         116
        .size:           4
        .value_kind:     by_value
      - .offset:         120
        .size:           4
        .value_kind:     by_value
      - .offset:         124
        .size:           4
        .value_kind:     by_value
      - .offset:         128
        .size:           4
        .value_kind:     by_value
      - .offset:         132
        .size:           4
        .value_kind:     by_value
      - .offset:         136
        .size:           4
        .value_kind:     by_value
      - .address_space:  global
        .offset:         144
        .size:           8
        .value_kind:     global_buffer
      - .address_space:  global
        .offset:         152
        .size:           8
        .value_kind:     global_buffer
      - .address_space:  global
        .offset:         160
        .size:           8
        .value_kind:     global_buffer
      - .offset:         168
        .size:           4
        .value_kind:     hidden_block_count_x
      - .offset:         172
        .size:           4
        .value_kind:     hidden_block_count_y
      - .offset:         176
        .size:           4
        .value_kind:     hidden_block_count_z
      - .offset:         180
        .size:           2
        .value_kind:     hidden_group_size_x
      - .offset:         182
        .size:           2
        .value_kind:     hidden_group_size_y
      - .offset:         184
        .size:           2
        .value_kind:     hidden_group_size_z
      - .offset:         186
        .size:           2
        .value_kind:     hidden_remainder_x
      - .offset:         188
        .size:           2
        .value_kind:     hidden_remainder_y
      - .offset:         190
        .size:           2
        .value_kind:     hidden_remainder_z
      - .offset:         208
        .size:           8
        .value_kind:     hidden_global_offset_x
      - .offset:         216
        .size:           8
        .value_kind:     hidden_global_offset_y
      - .offset:         224
        .size:           8
        .value_kind:     hidden_global_offset_z
      - .offset:         232
        .size:           2
        .value_kind:     hidden_grid_dims
    .group_segment_fixed_size: 0
    .kernarg_segment_align: 8
    .kernarg_segment_size: 424
    .language:       OpenCL C
    .language_version:
      - 2
      - 0
    .max_flat_workgroup_size: 1024
    .name:           _ZL11k_bin_bcastIXadL_ZL6op_addffEE6__halfffJPKfS2_S2_EEvPKT0_PKT1_PT2_iii15HIP_vector_typeIjLj3EESC_SC_SC_SC_iiiiiiiiiiiDpT3_
    .private_segment_fixed_size: 0
    .sgpr_count:     46
    .sgpr_spill_count: 0
    .symbol:         _ZL11k_bin_bcastIXadL_ZL6op_addffEE6__halfffJPKfS2_S2_EEvPKT0_PKT1_PT2_iii15HIP_vector_typeIjLj3EESC_SC_SC_SC_iiiiiiiiiiiDpT3_.kd
    .uniform_work_group_size: 1
    .uses_dynamic_stack: false
    .vgpr_count:     17
    .vgpr_spill_count: 0
    .wavefront_size: 32
    .workgroup_processor_mode: 1
  - .args:
      - .address_space:  global
        .offset:         0
        .size:           8
        .value_kind:     global_buffer
      - .address_space:  global
        .offset:         8
        .size:           8
        .value_kind:     global_buffer
      - .address_space:  global
        .offset:         16
        .size:           8
        .value_kind:     global_buffer
      - .offset:         24
        .size:           12
        .value_kind:     by_value
      - .offset:         36
        .size:           12
        .value_kind:     by_value
      - .offset:         48
        .size:           12
        .value_kind:     by_value
      - .offset:         60
        .size:           4
        .value_kind:     by_value
      - .offset:         64
        .size:           12
        .value_kind:     by_value
      - .offset:         76
        .size:           12
        .value_kind:     by_value
      - .offset:         88
        .size:           12
        .value_kind:     by_value
      - .offset:         100
        .size:           12
        .value_kind:     by_value
      - .offset:         112
        .size:           12
        .value_kind:     by_value
      - .offset:         124
        .size:           12
        .value_kind:     by_value
      - .offset:         136
        .size:           4
        .value_kind:     by_value
      - .offset:         140
        .size:           4
        .value_kind:     by_value
      - .offset:         144
        .size:           4
        .value_kind:     by_value
      - .offset:         148
        .size:           4
        .value_kind:     by_value
      - .offset:         152
        .size:           4
        .value_kind:     by_value
      - .offset:         156
        .size:           4
        .value_kind:     by_value
      - .offset:         160
        .size:           4
        .value_kind:     by_value
      - .offset:         164
        .size:           4
        .value_kind:     by_value
      - .offset:         168
        .size:           4
        .value_kind:     by_value
      - .offset:         172
        .size:           4
        .value_kind:     by_value
      - .offset:         176
        .size:           4
        .value_kind:     by_value
      - .address_space:  global
        .offset:         184
        .size:           8
        .value_kind:     global_buffer
      - .address_space:  global
        .offset:         192
        .size:           8
        .value_kind:     global_buffer
      - .address_space:  global
        .offset:         200
        .size:           8
        .value_kind:     global_buffer
      - .address_space:  global
        .offset:         208
        .size:           8
        .value_kind:     global_buffer
      - .offset:         216
        .size:           4
        .value_kind:     hidden_block_count_x
      - .offset:         220
        .size:           4
        .value_kind:     hidden_block_count_y
      - .offset:         224
        .size:           4
        .value_kind:     hidden_block_count_z
      - .offset:         228
        .size:           2
        .value_kind:     hidden_group_size_x
      - .offset:         230
        .size:           2
        .value_kind:     hidden_group_size_y
      - .offset:         232
        .size:           2
        .value_kind:     hidden_group_size_z
      - .offset:         234
        .size:           2
        .value_kind:     hidden_remainder_x
      - .offset:         236
        .size:           2
        .value_kind:     hidden_remainder_y
      - .offset:         238
        .size:           2
        .value_kind:     hidden_remainder_z
      - .offset:         256
        .size:           8
        .value_kind:     hidden_global_offset_x
      - .offset:         264
        .size:           8
        .value_kind:     hidden_global_offset_y
      - .offset:         272
        .size:           8
        .value_kind:     hidden_global_offset_z
      - .offset:         280
        .size:           2
        .value_kind:     hidden_grid_dims
    .group_segment_fixed_size: 0
    .kernarg_segment_align: 8
    .kernarg_segment_size: 472
    .language:       OpenCL C
    .language_version:
      - 2
      - 0
    .max_flat_workgroup_size: 1024
    .name:           _ZL19k_bin_bcast_unravelIXadL_ZL6op_addffEEfffJPKfS1_S1_S1_EEvPKT0_PKT1_PT2_15HIP_vector_typeIjLj3EESB_SB_jSB_SB_SB_SB_SB_SB_iiiiiiiiiiiDpT3_
    .private_segment_fixed_size: 0
    .sgpr_count:     30
    .sgpr_spill_count: 0
    .symbol:         _ZL19k_bin_bcast_unravelIXadL_ZL6op_addffEEfffJPKfS1_S1_S1_EEvPKT0_PKT1_PT2_15HIP_vector_typeIjLj3EESB_SB_jSB_SB_SB_SB_SB_SB_iiiiiiiiiiiDpT3_.kd
    .uniform_work_group_size: 1
    .uses_dynamic_stack: false
    .vgpr_count:     12
    .vgpr_spill_count: 0
    .wavefront_size: 32
    .workgroup_processor_mode: 1
  - .args:
      - .address_space:  global
        .offset:         0
        .size:           8
        .value_kind:     global_buffer
      - .address_space:  global
        .offset:         8
        .size:           8
        .value_kind:     global_buffer
      - .address_space:  global
        .offset:         16
        .size:           8
        .value_kind:     global_buffer
      - .offset:         24
        .size:           4
        .value_kind:     by_value
      - .offset:         28
        .size:           4
        .value_kind:     by_value
      - .offset:         32
        .size:           4
        .value_kind:     by_value
      - .offset:         36
        .size:           12
        .value_kind:     by_value
      - .offset:         48
        .size:           12
        .value_kind:     by_value
      - .offset:         60
        .size:           12
        .value_kind:     by_value
      - .offset:         72
        .size:           12
        .value_kind:     by_value
      - .offset:         84
        .size:           12
        .value_kind:     by_value
      - .offset:         96
        .size:           4
        .value_kind:     by_value
      - .offset:         100
        .size:           4
        .value_kind:     by_value
      - .offset:         104
        .size:           4
        .value_kind:     by_value
      - .offset:         108
        .size:           4
        .value_kind:     by_value
      - .offset:         112
        .size:           4
        .value_kind:     by_value
      - .offset:         116
        .size:           4
        .value_kind:     by_value
      - .offset:         120
        .size:           4
        .value_kind:     by_value
      - .offset:         124
        .size:           4
        .value_kind:     by_value
      - .offset:         128
        .size:           4
        .value_kind:     by_value
      - .offset:         132
        .size:           4
        .value_kind:     by_value
      - .offset:         136
        .size:           4
        .value_kind:     by_value
      - .address_space:  global
        .offset:         144
        .size:           8
        .value_kind:     global_buffer
      - .address_space:  global
        .offset:         152
        .size:           8
        .value_kind:     global_buffer
      - .address_space:  global
        .offset:         160
        .size:           8
        .value_kind:     global_buffer
      - .address_space:  global
        .offset:         168
        .size:           8
        .value_kind:     global_buffer
      - .offset:         176
        .size:           4
        .value_kind:     hidden_block_count_x
      - .offset:         180
        .size:           4
        .value_kind:     hidden_block_count_y
      - .offset:         184
        .size:           4
        .value_kind:     hidden_block_count_z
      - .offset:         188
        .size:           2
        .value_kind:     hidden_group_size_x
      - .offset:         190
        .size:           2
        .value_kind:     hidden_group_size_y
      - .offset:         192
        .size:           2
        .value_kind:     hidden_group_size_z
      - .offset:         194
        .size:           2
        .value_kind:     hidden_remainder_x
      - .offset:         196
        .size:           2
        .value_kind:     hidden_remainder_y
      - .offset:         198
        .size:           2
        .value_kind:     hidden_remainder_z
      - .offset:         216
        .size:           8
        .value_kind:     hidden_global_offset_x
      - .offset:         224
        .size:           8
        .value_kind:     hidden_global_offset_y
      - .offset:         232
        .size:           8
        .value_kind:     hidden_global_offset_z
      - .offset:         240
        .size:           2
        .value_kind:     hidden_grid_dims
    .group_segment_fixed_size: 0
    .kernarg_segment_align: 8
    .kernarg_segment_size: 432
    .language:       OpenCL C
    .language_version:
      - 2
      - 0
    .max_flat_workgroup_size: 1024
    .name:           _ZL11k_bin_bcastIXadL_ZL6op_addffEEfffJPKfS1_S1_S1_EEvPKT0_PKT1_PT2_iii15HIP_vector_typeIjLj3EESB_SB_SB_SB_iiiiiiiiiiiDpT3_
    .private_segment_fixed_size: 0
    .sgpr_count:     38
    .sgpr_spill_count: 0
    .symbol:         _ZL11k_bin_bcastIXadL_ZL6op_addffEEfffJPKfS1_S1_S1_EEvPKT0_PKT1_PT2_iii15HIP_vector_typeIjLj3EESB_SB_SB_SB_iiiiiiiiiiiDpT3_.kd
    .uniform_work_group_size: 1
    .uses_dynamic_stack: false
    .vgpr_count:     17
    .vgpr_spill_count: 0
    .wavefront_size: 32
    .workgroup_processor_mode: 1
  - .args:
      - .address_space:  global
        .offset:         0
        .size:           8
        .value_kind:     global_buffer
      - .address_space:  global
        .offset:         8
        .size:           8
        .value_kind:     global_buffer
      - .address_space:  global
        .offset:         16
        .size:           8
        .value_kind:     global_buffer
      - .offset:         24
        .size:           12
        .value_kind:     by_value
      - .offset:         36
        .size:           12
        .value_kind:     by_value
      - .offset:         48
        .size:           12
        .value_kind:     by_value
      - .offset:         60
        .size:           4
        .value_kind:     by_value
      - .offset:         64
        .size:           12
        .value_kind:     by_value
      - .offset:         76
        .size:           12
        .value_kind:     by_value
      - .offset:         88
        .size:           12
        .value_kind:     by_value
      - .offset:         100
        .size:           12
        .value_kind:     by_value
      - .offset:         112
        .size:           12
        .value_kind:     by_value
      - .offset:         124
        .size:           12
        .value_kind:     by_value
      - .offset:         136
        .size:           4
        .value_kind:     by_value
      - .offset:         140
        .size:           4
        .value_kind:     by_value
      - .offset:         144
        .size:           4
        .value_kind:     by_value
      - .offset:         148
        .size:           4
        .value_kind:     by_value
      - .offset:         152
        .size:           4
        .value_kind:     by_value
      - .offset:         156
        .size:           4
        .value_kind:     by_value
      - .offset:         160
        .size:           4
        .value_kind:     by_value
      - .offset:         164
        .size:           4
        .value_kind:     by_value
      - .offset:         168
        .size:           4
        .value_kind:     by_value
      - .offset:         172
        .size:           4
        .value_kind:     by_value
      - .offset:         176
        .size:           4
        .value_kind:     by_value
      - .address_space:  global
        .offset:         184
        .size:           8
        .value_kind:     global_buffer
      - .address_space:  global
        .offset:         192
        .size:           8
        .value_kind:     global_buffer
      - .address_space:  global
        .offset:         200
        .size:           8
        .value_kind:     global_buffer
      - .address_space:  global
        .offset:         208
        .size:           8
        .value_kind:     global_buffer
      - .offset:         216
        .size:           4
        .value_kind:     hidden_block_count_x
      - .offset:         220
        .size:           4
        .value_kind:     hidden_block_count_y
      - .offset:         224
        .size:           4
        .value_kind:     hidden_block_count_z
      - .offset:         228
        .size:           2
        .value_kind:     hidden_group_size_x
      - .offset:         230
        .size:           2
        .value_kind:     hidden_group_size_y
      - .offset:         232
        .size:           2
        .value_kind:     hidden_group_size_z
      - .offset:         234
        .size:           2
        .value_kind:     hidden_remainder_x
      - .offset:         236
        .size:           2
        .value_kind:     hidden_remainder_y
      - .offset:         238
        .size:           2
        .value_kind:     hidden_remainder_z
      - .offset:         256
        .size:           8
        .value_kind:     hidden_global_offset_x
      - .offset:         264
        .size:           8
        .value_kind:     hidden_global_offset_y
      - .offset:         272
        .size:           8
        .value_kind:     hidden_global_offset_z
      - .offset:         280
        .size:           2
        .value_kind:     hidden_grid_dims
    .group_segment_fixed_size: 0
    .kernarg_segment_align: 8
    .kernarg_segment_size: 472
    .language:       OpenCL C
    .language_version:
      - 2
      - 0
    .max_flat_workgroup_size: 1024
    .name:           _ZL19k_bin_bcast_unravelIXadL_ZL6op_addffEE6__halfS0_S0_JPKS0_S2_S2_S2_EEvPKT0_PKT1_PT2_15HIP_vector_typeIjLj3EESC_SC_jSC_SC_SC_SC_SC_SC_iiiiiiiiiiiDpT3_
    .private_segment_fixed_size: 0
    .sgpr_count:     30
    .sgpr_spill_count: 0
    .symbol:         _ZL19k_bin_bcast_unravelIXadL_ZL6op_addffEE6__halfS0_S0_JPKS0_S2_S2_S2_EEvPKT0_PKT1_PT2_15HIP_vector_typeIjLj3EESC_SC_jSC_SC_SC_SC_SC_SC_iiiiiiiiiiiDpT3_.kd
    .uniform_work_group_size: 1
    .uses_dynamic_stack: false
    .vgpr_count:     12
    .vgpr_spill_count: 0
    .wavefront_size: 32
    .workgroup_processor_mode: 1
  - .args:
      - .address_space:  global
        .offset:         0
        .size:           8
        .value_kind:     global_buffer
      - .address_space:  global
        .offset:         8
        .size:           8
        .value_kind:     global_buffer
      - .address_space:  global
        .offset:         16
        .size:           8
        .value_kind:     global_buffer
      - .offset:         24
        .size:           4
        .value_kind:     by_value
      - .offset:         28
        .size:           4
        .value_kind:     by_value
      - .offset:         32
        .size:           4
        .value_kind:     by_value
      - .offset:         36
        .size:           12
        .value_kind:     by_value
      - .offset:         48
        .size:           12
        .value_kind:     by_value
      - .offset:         60
        .size:           12
        .value_kind:     by_value
      - .offset:         72
        .size:           12
        .value_kind:     by_value
      - .offset:         84
        .size:           12
        .value_kind:     by_value
      - .offset:         96
        .size:           4
        .value_kind:     by_value
      - .offset:         100
        .size:           4
        .value_kind:     by_value
      - .offset:         104
        .size:           4
        .value_kind:     by_value
      - .offset:         108
        .size:           4
        .value_kind:     by_value
      - .offset:         112
        .size:           4
        .value_kind:     by_value
      - .offset:         116
        .size:           4
        .value_kind:     by_value
      - .offset:         120
        .size:           4
        .value_kind:     by_value
      - .offset:         124
        .size:           4
        .value_kind:     by_value
      - .offset:         128
        .size:           4
        .value_kind:     by_value
      - .offset:         132
        .size:           4
        .value_kind:     by_value
      - .offset:         136
        .size:           4
        .value_kind:     by_value
      - .address_space:  global
        .offset:         144
        .size:           8
        .value_kind:     global_buffer
      - .address_space:  global
        .offset:         152
        .size:           8
        .value_kind:     global_buffer
      - .address_space:  global
        .offset:         160
        .size:           8
        .value_kind:     global_buffer
      - .address_space:  global
        .offset:         168
        .size:           8
        .value_kind:     global_buffer
      - .offset:         176
        .size:           4
        .value_kind:     hidden_block_count_x
      - .offset:         180
        .size:           4
        .value_kind:     hidden_block_count_y
      - .offset:         184
        .size:           4
        .value_kind:     hidden_block_count_z
      - .offset:         188
        .size:           2
        .value_kind:     hidden_group_size_x
      - .offset:         190
        .size:           2
        .value_kind:     hidden_group_size_y
      - .offset:         192
        .size:           2
        .value_kind:     hidden_group_size_z
      - .offset:         194
        .size:           2
        .value_kind:     hidden_remainder_x
      - .offset:         196
        .size:           2
        .value_kind:     hidden_remainder_y
      - .offset:         198
        .size:           2
        .value_kind:     hidden_remainder_z
      - .offset:         216
        .size:           8
        .value_kind:     hidden_global_offset_x
      - .offset:         224
        .size:           8
        .value_kind:     hidden_global_offset_y
      - .offset:         232
        .size:           8
        .value_kind:     hidden_global_offset_z
      - .offset:         240
        .size:           2
        .value_kind:     hidden_grid_dims
    .group_segment_fixed_size: 0
    .kernarg_segment_align: 8
    .kernarg_segment_size: 432
    .language:       OpenCL C
    .language_version:
      - 2
      - 0
    .max_flat_workgroup_size: 1024
    .name:           _ZL11k_bin_bcastIXadL_ZL6op_addffEE6__halfS0_S0_JPKS0_S2_S2_S2_EEvPKT0_PKT1_PT2_iii15HIP_vector_typeIjLj3EESC_SC_SC_SC_iiiiiiiiiiiDpT3_
    .private_segment_fixed_size: 0
    .sgpr_count:     38
    .sgpr_spill_count: 0
    .symbol:         _ZL11k_bin_bcastIXadL_ZL6op_addffEE6__halfS0_S0_JPKS0_S2_S2_S2_EEvPKT0_PKT1_PT2_iii15HIP_vector_typeIjLj3EESC_SC_SC_SC_iiiiiiiiiiiDpT3_.kd
    .uniform_work_group_size: 1
    .uses_dynamic_stack: false
    .vgpr_count:     17
    .vgpr_spill_count: 0
    .wavefront_size: 32
    .workgroup_processor_mode: 1
  - .args:
      - .address_space:  global
        .offset:         0
        .size:           8
        .value_kind:     global_buffer
      - .address_space:  global
        .offset:         8
        .size:           8
        .value_kind:     global_buffer
      - .address_space:  global
        .offset:         16
        .size:           8
        .value_kind:     global_buffer
      - .offset:         24
        .size:           12
        .value_kind:     by_value
      - .offset:         36
        .size:           12
        .value_kind:     by_value
      - .offset:         48
        .size:           12
        .value_kind:     by_value
      - .offset:         60
        .size:           4
        .value_kind:     by_value
      - .offset:         64
        .size:           12
        .value_kind:     by_value
      - .offset:         76
        .size:           12
        .value_kind:     by_value
      - .offset:         88
        .size:           12
        .value_kind:     by_value
      - .offset:         100
        .size:           12
        .value_kind:     by_value
      - .offset:         112
        .size:           12
        .value_kind:     by_value
      - .offset:         124
        .size:           12
        .value_kind:     by_value
      - .offset:         136
        .size:           4
        .value_kind:     by_value
      - .offset:         140
        .size:           4
        .value_kind:     by_value
      - .offset:         144
        .size:           4
        .value_kind:     by_value
      - .offset:         148
        .size:           4
        .value_kind:     by_value
      - .offset:         152
        .size:           4
        .value_kind:     by_value
      - .offset:         156
        .size:           4
        .value_kind:     by_value
      - .offset:         160
        .size:           4
        .value_kind:     by_value
      - .offset:         164
        .size:           4
        .value_kind:     by_value
      - .offset:         168
        .size:           4
        .value_kind:     by_value
      - .offset:         172
        .size:           4
        .value_kind:     by_value
      - .offset:         176
        .size:           4
        .value_kind:     by_value
      - .address_space:  global
        .offset:         184
        .size:           8
        .value_kind:     global_buffer
      - .address_space:  global
        .offset:         192
        .size:           8
        .value_kind:     global_buffer
      - .address_space:  global
        .offset:         200
        .size:           8
        .value_kind:     global_buffer
      - .address_space:  global
        .offset:         208
        .size:           8
        .value_kind:     global_buffer
      - .offset:         216
        .size:           4
        .value_kind:     hidden_block_count_x
      - .offset:         220
        .size:           4
        .value_kind:     hidden_block_count_y
      - .offset:         224
        .size:           4
        .value_kind:     hidden_block_count_z
      - .offset:         228
        .size:           2
        .value_kind:     hidden_group_size_x
      - .offset:         230
        .size:           2
        .value_kind:     hidden_group_size_y
      - .offset:         232
        .size:           2
        .value_kind:     hidden_group_size_z
      - .offset:         234
        .size:           2
        .value_kind:     hidden_remainder_x
      - .offset:         236
        .size:           2
        .value_kind:     hidden_remainder_y
      - .offset:         238
        .size:           2
        .value_kind:     hidden_remainder_z
      - .offset:         256
        .size:           8
        .value_kind:     hidden_global_offset_x
      - .offset:         264
        .size:           8
        .value_kind:     hidden_global_offset_y
      - .offset:         272
        .size:           8
        .value_kind:     hidden_global_offset_z
      - .offset:         280
        .size:           2
        .value_kind:     hidden_grid_dims
    .group_segment_fixed_size: 0
    .kernarg_segment_align: 8
    .kernarg_segment_size: 472
    .language:       OpenCL C
    .language_version:
      - 2
      - 0
    .max_flat_workgroup_size: 1024
    .name:           _ZL19k_bin_bcast_unravelIXadL_ZL6op_addffEE6__halffS0_JPKfS2_S2_S2_EEvPKT0_PKT1_PT2_15HIP_vector_typeIjLj3EESC_SC_jSC_SC_SC_SC_SC_SC_iiiiiiiiiiiDpT3_
    .private_segment_fixed_size: 0
    .sgpr_count:     30
    .sgpr_spill_count: 0
    .symbol:         _ZL19k_bin_bcast_unravelIXadL_ZL6op_addffEE6__halffS0_JPKfS2_S2_S2_EEvPKT0_PKT1_PT2_15HIP_vector_typeIjLj3EESC_SC_jSC_SC_SC_SC_SC_SC_iiiiiiiiiiiDpT3_.kd
    .uniform_work_group_size: 1
    .uses_dynamic_stack: false
    .vgpr_count:     12
    .vgpr_spill_count: 0
    .wavefront_size: 32
    .workgroup_processor_mode: 1
  - .args:
      - .address_space:  global
        .offset:         0
        .size:           8
        .value_kind:     global_buffer
      - .address_space:  global
        .offset:         8
        .size:           8
        .value_kind:     global_buffer
      - .address_space:  global
        .offset:         16
        .size:           8
        .value_kind:     global_buffer
      - .offset:         24
        .size:           4
        .value_kind:     by_value
      - .offset:         28
        .size:           4
        .value_kind:     by_value
      - .offset:         32
        .size:           4
        .value_kind:     by_value
      - .offset:         36
        .size:           12
        .value_kind:     by_value
      - .offset:         48
        .size:           12
        .value_kind:     by_value
      - .offset:         60
        .size:           12
        .value_kind:     by_value
      - .offset:         72
        .size:           12
        .value_kind:     by_value
      - .offset:         84
        .size:           12
        .value_kind:     by_value
      - .offset:         96
        .size:           4
        .value_kind:     by_value
      - .offset:         100
        .size:           4
        .value_kind:     by_value
      - .offset:         104
        .size:           4
        .value_kind:     by_value
      - .offset:         108
        .size:           4
        .value_kind:     by_value
      - .offset:         112
        .size:           4
        .value_kind:     by_value
      - .offset:         116
        .size:           4
        .value_kind:     by_value
      - .offset:         120
        .size:           4
        .value_kind:     by_value
      - .offset:         124
        .size:           4
        .value_kind:     by_value
      - .offset:         128
        .size:           4
        .value_kind:     by_value
      - .offset:         132
        .size:           4
        .value_kind:     by_value
      - .offset:         136
        .size:           4
        .value_kind:     by_value
      - .address_space:  global
        .offset:         144
        .size:           8
        .value_kind:     global_buffer
      - .address_space:  global
        .offset:         152
        .size:           8
        .value_kind:     global_buffer
      - .address_space:  global
        .offset:         160
        .size:           8
        .value_kind:     global_buffer
      - .address_space:  global
        .offset:         168
        .size:           8
        .value_kind:     global_buffer
      - .offset:         176
        .size:           4
        .value_kind:     hidden_block_count_x
      - .offset:         180
        .size:           4
        .value_kind:     hidden_block_count_y
      - .offset:         184
        .size:           4
        .value_kind:     hidden_block_count_z
      - .offset:         188
        .size:           2
        .value_kind:     hidden_group_size_x
      - .offset:         190
        .size:           2
        .value_kind:     hidden_group_size_y
      - .offset:         192
        .size:           2
        .value_kind:     hidden_group_size_z
      - .offset:         194
        .size:           2
        .value_kind:     hidden_remainder_x
      - .offset:         196
        .size:           2
        .value_kind:     hidden_remainder_y
      - .offset:         198
        .size:           2
        .value_kind:     hidden_remainder_z
      - .offset:         216
        .size:           8
        .value_kind:     hidden_global_offset_x
      - .offset:         224
        .size:           8
        .value_kind:     hidden_global_offset_y
      - .offset:         232
        .size:           8
        .value_kind:     hidden_global_offset_z
      - .offset:         240
        .size:           2
        .value_kind:     hidden_grid_dims
    .group_segment_fixed_size: 0
    .kernarg_segment_align: 8
    .kernarg_segment_size: 432
    .language:       OpenCL C
    .language_version:
      - 2
      - 0
    .max_flat_workgroup_size: 1024
    .name:           _ZL11k_bin_bcastIXadL_ZL6op_addffEE6__halffS0_JPKfS2_S2_S2_EEvPKT0_PKT1_PT2_iii15HIP_vector_typeIjLj3EESC_SC_SC_SC_iiiiiiiiiiiDpT3_
    .private_segment_fixed_size: 0
    .sgpr_count:     38
    .sgpr_spill_count: 0
    .symbol:         _ZL11k_bin_bcastIXadL_ZL6op_addffEE6__halffS0_JPKfS2_S2_S2_EEvPKT0_PKT1_PT2_iii15HIP_vector_typeIjLj3EESC_SC_SC_SC_iiiiiiiiiiiDpT3_.kd
    .uniform_work_group_size: 1
    .uses_dynamic_stack: false
    .vgpr_count:     17
    .vgpr_spill_count: 0
    .wavefront_size: 32
    .workgroup_processor_mode: 1
  - .args:
      - .address_space:  global
        .offset:         0
        .size:           8
        .value_kind:     global_buffer
      - .address_space:  global
        .offset:         8
        .size:           8
        .value_kind:     global_buffer
      - .address_space:  global
        .offset:         16
        .size:           8
        .value_kind:     global_buffer
      - .offset:         24
        .size:           12
        .value_kind:     by_value
      - .offset:         36
        .size:           12
        .value_kind:     by_value
      - .offset:         48
        .size:           12
        .value_kind:     by_value
      - .offset:         60
        .size:           4
        .value_kind:     by_value
      - .offset:         64
        .size:           12
        .value_kind:     by_value
      - .offset:         76
        .size:           12
        .value_kind:     by_value
      - .offset:         88
        .size:           12
        .value_kind:     by_value
      - .offset:         100
        .size:           12
        .value_kind:     by_value
      - .offset:         112
        .size:           12
        .value_kind:     by_value
      - .offset:         124
        .size:           12
        .value_kind:     by_value
      - .offset:         136
        .size:           4
        .value_kind:     by_value
      - .offset:         140
        .size:           4
        .value_kind:     by_value
      - .offset:         144
        .size:           4
        .value_kind:     by_value
      - .offset:         148
        .size:           4
        .value_kind:     by_value
      - .offset:         152
        .size:           4
        .value_kind:     by_value
      - .offset:         156
        .size:           4
        .value_kind:     by_value
      - .offset:         160
        .size:           4
        .value_kind:     by_value
      - .offset:         164
        .size:           4
        .value_kind:     by_value
      - .offset:         168
        .size:           4
        .value_kind:     by_value
      - .offset:         172
        .size:           4
        .value_kind:     by_value
      - .offset:         176
        .size:           4
        .value_kind:     by_value
      - .address_space:  global
        .offset:         184
        .size:           8
        .value_kind:     global_buffer
      - .address_space:  global
        .offset:         192
        .size:           8
        .value_kind:     global_buffer
      - .address_space:  global
        .offset:         200
        .size:           8
        .value_kind:     global_buffer
      - .address_space:  global
        .offset:         208
        .size:           8
        .value_kind:     global_buffer
      - .offset:         216
        .size:           4
        .value_kind:     hidden_block_count_x
      - .offset:         220
        .size:           4
        .value_kind:     hidden_block_count_y
      - .offset:         224
        .size:           4
        .value_kind:     hidden_block_count_z
      - .offset:         228
        .size:           2
        .value_kind:     hidden_group_size_x
      - .offset:         230
        .size:           2
        .value_kind:     hidden_group_size_y
      - .offset:         232
        .size:           2
        .value_kind:     hidden_group_size_z
      - .offset:         234
        .size:           2
        .value_kind:     hidden_remainder_x
      - .offset:         236
        .size:           2
        .value_kind:     hidden_remainder_y
      - .offset:         238
        .size:           2
        .value_kind:     hidden_remainder_z
      - .offset:         256
        .size:           8
        .value_kind:     hidden_global_offset_x
      - .offset:         264
        .size:           8
        .value_kind:     hidden_global_offset_y
      - .offset:         272
        .size:           8
        .value_kind:     hidden_global_offset_z
      - .offset:         280
        .size:           2
        .value_kind:     hidden_grid_dims
    .group_segment_fixed_size: 0
    .kernarg_segment_align: 8
    .kernarg_segment_size: 472
    .language:       OpenCL C
    .language_version:
      - 2
      - 0
    .max_flat_workgroup_size: 1024
    .name:           _ZL19k_bin_bcast_unravelIXadL_ZL6op_addffEE6__halfffJPKfS2_S2_S2_EEvPKT0_PKT1_PT2_15HIP_vector_typeIjLj3EESC_SC_jSC_SC_SC_SC_SC_SC_iiiiiiiiiiiDpT3_
    .private_segment_fixed_size: 0
    .sgpr_count:     30
    .sgpr_spill_count: 0
    .symbol:         _ZL19k_bin_bcast_unravelIXadL_ZL6op_addffEE6__halfffJPKfS2_S2_S2_EEvPKT0_PKT1_PT2_15HIP_vector_typeIjLj3EESC_SC_jSC_SC_SC_SC_SC_SC_iiiiiiiiiiiDpT3_.kd
    .uniform_work_group_size: 1
    .uses_dynamic_stack: false
    .vgpr_count:     12
    .vgpr_spill_count: 0
    .wavefront_size: 32
    .workgroup_processor_mode: 1
  - .args:
      - .address_space:  global
        .offset:         0
        .size:           8
        .value_kind:     global_buffer
      - .address_space:  global
        .offset:         8
        .size:           8
        .value_kind:     global_buffer
      - .address_space:  global
        .offset:         16
        .size:           8
        .value_kind:     global_buffer
      - .offset:         24
        .size:           4
        .value_kind:     by_value
      - .offset:         28
        .size:           4
        .value_kind:     by_value
      - .offset:         32
        .size:           4
        .value_kind:     by_value
      - .offset:         36
        .size:           12
        .value_kind:     by_value
      - .offset:         48
        .size:           12
        .value_kind:     by_value
      - .offset:         60
        .size:           12
        .value_kind:     by_value
      - .offset:         72
        .size:           12
        .value_kind:     by_value
      - .offset:         84
        .size:           12
        .value_kind:     by_value
      - .offset:         96
        .size:           4
        .value_kind:     by_value
      - .offset:         100
        .size:           4
        .value_kind:     by_value
      - .offset:         104
        .size:           4
        .value_kind:     by_value
      - .offset:         108
        .size:           4
        .value_kind:     by_value
      - .offset:         112
        .size:           4
        .value_kind:     by_value
      - .offset:         116
        .size:           4
        .value_kind:     by_value
      - .offset:         120
        .size:           4
        .value_kind:     by_value
      - .offset:         124
        .size:           4
        .value_kind:     by_value
      - .offset:         128
        .size:           4
        .value_kind:     by_value
      - .offset:         132
        .size:           4
        .value_kind:     by_value
      - .offset:         136
        .size:           4
        .value_kind:     by_value
      - .address_space:  global
        .offset:         144
        .size:           8
        .value_kind:     global_buffer
      - .address_space:  global
        .offset:         152
        .size:           8
        .value_kind:     global_buffer
      - .address_space:  global
        .offset:         160
        .size:           8
        .value_kind:     global_buffer
      - .address_space:  global
        .offset:         168
        .size:           8
        .value_kind:     global_buffer
      - .offset:         176
        .size:           4
        .value_kind:     hidden_block_count_x
      - .offset:         180
        .size:           4
        .value_kind:     hidden_block_count_y
      - .offset:         184
        .size:           4
        .value_kind:     hidden_block_count_z
      - .offset:         188
        .size:           2
        .value_kind:     hidden_group_size_x
      - .offset:         190
        .size:           2
        .value_kind:     hidden_group_size_y
      - .offset:         192
        .size:           2
        .value_kind:     hidden_group_size_z
      - .offset:         194
        .size:           2
        .value_kind:     hidden_remainder_x
      - .offset:         196
        .size:           2
        .value_kind:     hidden_remainder_y
      - .offset:         198
        .size:           2
        .value_kind:     hidden_remainder_z
      - .offset:         216
        .size:           8
        .value_kind:     hidden_global_offset_x
      - .offset:         224
        .size:           8
        .value_kind:     hidden_global_offset_y
      - .offset:         232
        .size:           8
        .value_kind:     hidden_global_offset_z
      - .offset:         240
        .size:           2
        .value_kind:     hidden_grid_dims
    .group_segment_fixed_size: 0
    .kernarg_segment_align: 8
    .kernarg_segment_size: 432
    .language:       OpenCL C
    .language_version:
      - 2
      - 0
    .max_flat_workgroup_size: 1024
    .name:           _ZL11k_bin_bcastIXadL_ZL6op_addffEE6__halfffJPKfS2_S2_S2_EEvPKT0_PKT1_PT2_iii15HIP_vector_typeIjLj3EESC_SC_SC_SC_iiiiiiiiiiiDpT3_
    .private_segment_fixed_size: 0
    .sgpr_count:     38
    .sgpr_spill_count: 0
    .symbol:         _ZL11k_bin_bcastIXadL_ZL6op_addffEE6__halfffJPKfS2_S2_S2_EEvPKT0_PKT1_PT2_iii15HIP_vector_typeIjLj3EESC_SC_SC_SC_iiiiiiiiiiiDpT3_.kd
    .uniform_work_group_size: 1
    .uses_dynamic_stack: false
    .vgpr_count:     17
    .vgpr_spill_count: 0
    .wavefront_size: 32
    .workgroup_processor_mode: 1
  - .args:
      - .address_space:  global
        .offset:         0
        .size:           8
        .value_kind:     global_buffer
      - .address_space:  global
        .offset:         8
        .size:           8
        .value_kind:     global_buffer
      - .address_space:  global
        .offset:         16
        .size:           8
        .value_kind:     global_buffer
      - .offset:         24
        .size:           12
        .value_kind:     by_value
      - .offset:         36
        .size:           12
        .value_kind:     by_value
      - .offset:         48
        .size:           12
        .value_kind:     by_value
      - .offset:         60
        .size:           4
        .value_kind:     by_value
      - .offset:         64
        .size:           12
        .value_kind:     by_value
      - .offset:         76
        .size:           12
        .value_kind:     by_value
      - .offset:         88
        .size:           12
        .value_kind:     by_value
      - .offset:         100
        .size:           12
        .value_kind:     by_value
      - .offset:         112
        .size:           12
        .value_kind:     by_value
      - .offset:         124
        .size:           12
        .value_kind:     by_value
      - .offset:         136
        .size:           4
        .value_kind:     by_value
      - .offset:         140
        .size:           4
        .value_kind:     by_value
      - .offset:         144
        .size:           4
        .value_kind:     by_value
      - .offset:         148
        .size:           4
        .value_kind:     by_value
      - .offset:         152
        .size:           4
        .value_kind:     by_value
      - .offset:         156
        .size:           4
        .value_kind:     by_value
      - .offset:         160
        .size:           4
        .value_kind:     by_value
      - .offset:         164
        .size:           4
        .value_kind:     by_value
      - .offset:         168
        .size:           4
        .value_kind:     by_value
      - .offset:         172
        .size:           4
        .value_kind:     by_value
      - .offset:         176
        .size:           4
        .value_kind:     by_value
      - .address_space:  global
        .offset:         184
        .size:           8
        .value_kind:     global_buffer
      - .address_space:  global
        .offset:         192
        .size:           8
        .value_kind:     global_buffer
      - .address_space:  global
        .offset:         200
        .size:           8
        .value_kind:     global_buffer
      - .address_space:  global
        .offset:         208
        .size:           8
        .value_kind:     global_buffer
      - .address_space:  global
        .offset:         216
        .size:           8
        .value_kind:     global_buffer
      - .offset:         224
        .size:           4
        .value_kind:     hidden_block_count_x
      - .offset:         228
        .size:           4
        .value_kind:     hidden_block_count_y
      - .offset:         232
        .size:           4
        .value_kind:     hidden_block_count_z
      - .offset:         236
        .size:           2
        .value_kind:     hidden_group_size_x
      - .offset:         238
        .size:           2
        .value_kind:     hidden_group_size_y
      - .offset:         240
        .size:           2
        .value_kind:     hidden_group_size_z
      - .offset:         242
        .size:           2
        .value_kind:     hidden_remainder_x
      - .offset:         244
        .size:           2
        .value_kind:     hidden_remainder_y
      - .offset:         246
        .size:           2
        .value_kind:     hidden_remainder_z
      - .offset:         264
        .size:           8
        .value_kind:     hidden_global_offset_x
      - .offset:         272
        .size:           8
        .value_kind:     hidden_global_offset_y
      - .offset:         280
        .size:           8
        .value_kind:     hidden_global_offset_z
      - .offset:         288
        .size:           2
        .value_kind:     hidden_grid_dims
    .group_segment_fixed_size: 0
    .kernarg_segment_align: 8
    .kernarg_segment_size: 480
    .language:       OpenCL C
    .language_version:
      - 2
      - 0
    .max_flat_workgroup_size: 1024
    .name:           _ZL19k_bin_bcast_unravelIXadL_ZL6op_addffEEfffJPKfS1_S1_S1_S1_EEvPKT0_PKT1_PT2_15HIP_vector_typeIjLj3EESB_SB_jSB_SB_SB_SB_SB_SB_iiiiiiiiiiiDpT3_
    .private_segment_fixed_size: 0
    .sgpr_count:     30
    .sgpr_spill_count: 0
    .symbol:         _ZL19k_bin_bcast_unravelIXadL_ZL6op_addffEEfffJPKfS1_S1_S1_S1_EEvPKT0_PKT1_PT2_15HIP_vector_typeIjLj3EESB_SB_jSB_SB_SB_SB_SB_SB_iiiiiiiiiiiDpT3_.kd
    .uniform_work_group_size: 1
    .uses_dynamic_stack: false
    .vgpr_count:     13
    .vgpr_spill_count: 0
    .wavefront_size: 32
    .workgroup_processor_mode: 1
  - .args:
      - .address_space:  global
        .offset:         0
        .size:           8
        .value_kind:     global_buffer
      - .address_space:  global
        .offset:         8
        .size:           8
        .value_kind:     global_buffer
      - .address_space:  global
        .offset:         16
        .size:           8
        .value_kind:     global_buffer
      - .offset:         24
        .size:           4
        .value_kind:     by_value
      - .offset:         28
        .size:           4
        .value_kind:     by_value
      - .offset:         32
        .size:           4
        .value_kind:     by_value
      - .offset:         36
        .size:           12
        .value_kind:     by_value
      - .offset:         48
        .size:           12
        .value_kind:     by_value
      - .offset:         60
        .size:           12
        .value_kind:     by_value
      - .offset:         72
        .size:           12
        .value_kind:     by_value
      - .offset:         84
        .size:           12
        .value_kind:     by_value
      - .offset:         96
        .size:           4
        .value_kind:     by_value
      - .offset:         100
        .size:           4
        .value_kind:     by_value
      - .offset:         104
        .size:           4
        .value_kind:     by_value
      - .offset:         108
        .size:           4
        .value_kind:     by_value
      - .offset:         112
        .size:           4
        .value_kind:     by_value
      - .offset:         116
        .size:           4
        .value_kind:     by_value
      - .offset:         120
        .size:           4
        .value_kind:     by_value
      - .offset:         124
        .size:           4
        .value_kind:     by_value
      - .offset:         128
        .size:           4
        .value_kind:     by_value
      - .offset:         132
        .size:           4
        .value_kind:     by_value
      - .offset:         136
        .size:           4
        .value_kind:     by_value
      - .address_space:  global
        .offset:         144
        .size:           8
        .value_kind:     global_buffer
      - .address_space:  global
        .offset:         152
        .size:           8
        .value_kind:     global_buffer
      - .address_space:  global
        .offset:         160
        .size:           8
        .value_kind:     global_buffer
      - .address_space:  global
        .offset:         168
        .size:           8
        .value_kind:     global_buffer
      - .address_space:  global
        .offset:         176
        .size:           8
        .value_kind:     global_buffer
      - .offset:         184
        .size:           4
        .value_kind:     hidden_block_count_x
      - .offset:         188
        .size:           4
        .value_kind:     hidden_block_count_y
      - .offset:         192
        .size:           4
        .value_kind:     hidden_block_count_z
      - .offset:         196
        .size:           2
        .value_kind:     hidden_group_size_x
      - .offset:         198
        .size:           2
        .value_kind:     hidden_group_size_y
      - .offset:         200
        .size:           2
        .value_kind:     hidden_group_size_z
      - .offset:         202
        .size:           2
        .value_kind:     hidden_remainder_x
      - .offset:         204
        .size:           2
        .value_kind:     hidden_remainder_y
      - .offset:         206
        .size:           2
        .value_kind:     hidden_remainder_z
      - .offset:         224
        .size:           8
        .value_kind:     hidden_global_offset_x
      - .offset:         232
        .size:           8
        .value_kind:     hidden_global_offset_y
      - .offset:         240
        .size:           8
        .value_kind:     hidden_global_offset_z
      - .offset:         248
        .size:           2
        .value_kind:     hidden_grid_dims
    .group_segment_fixed_size: 0
    .kernarg_segment_align: 8
    .kernarg_segment_size: 440
    .language:       OpenCL C
    .language_version:
      - 2
      - 0
    .max_flat_workgroup_size: 1024
    .name:           _ZL11k_bin_bcastIXadL_ZL6op_addffEEfffJPKfS1_S1_S1_S1_EEvPKT0_PKT1_PT2_iii15HIP_vector_typeIjLj3EESB_SB_SB_SB_iiiiiiiiiiiDpT3_
    .private_segment_fixed_size: 0
    .sgpr_count:     38
    .sgpr_spill_count: 0
    .symbol:         _ZL11k_bin_bcastIXadL_ZL6op_addffEEfffJPKfS1_S1_S1_S1_EEvPKT0_PKT1_PT2_iii15HIP_vector_typeIjLj3EESB_SB_SB_SB_iiiiiiiiiiiDpT3_.kd
    .uniform_work_group_size: 1
    .uses_dynamic_stack: false
    .vgpr_count:     17
    .vgpr_spill_count: 0
    .wavefront_size: 32
    .workgroup_processor_mode: 1
  - .args:
      - .address_space:  global
        .offset:         0
        .size:           8
        .value_kind:     global_buffer
      - .address_space:  global
        .offset:         8
        .size:           8
        .value_kind:     global_buffer
      - .address_space:  global
        .offset:         16
        .size:           8
        .value_kind:     global_buffer
      - .offset:         24
        .size:           12
        .value_kind:     by_value
      - .offset:         36
        .size:           12
        .value_kind:     by_value
      - .offset:         48
        .size:           12
        .value_kind:     by_value
      - .offset:         60
        .size:           4
        .value_kind:     by_value
      - .offset:         64
        .size:           12
        .value_kind:     by_value
      - .offset:         76
        .size:           12
        .value_kind:     by_value
      - .offset:         88
        .size:           12
        .value_kind:     by_value
      - .offset:         100
        .size:           12
        .value_kind:     by_value
      - .offset:         112
        .size:           12
        .value_kind:     by_value
      - .offset:         124
        .size:           12
        .value_kind:     by_value
      - .offset:         136
        .size:           4
        .value_kind:     by_value
      - .offset:         140
        .size:           4
        .value_kind:     by_value
      - .offset:         144
        .size:           4
        .value_kind:     by_value
      - .offset:         148
        .size:           4
        .value_kind:     by_value
      - .offset:         152
        .size:           4
        .value_kind:     by_value
      - .offset:         156
        .size:           4
        .value_kind:     by_value
      - .offset:         160
        .size:           4
        .value_kind:     by_value
      - .offset:         164
        .size:           4
        .value_kind:     by_value
      - .offset:         168
        .size:           4
        .value_kind:     by_value
      - .offset:         172
        .size:           4
        .value_kind:     by_value
      - .offset:         176
        .size:           4
        .value_kind:     by_value
      - .address_space:  global
        .offset:         184
        .size:           8
        .value_kind:     global_buffer
      - .address_space:  global
        .offset:         192
        .size:           8
        .value_kind:     global_buffer
      - .address_space:  global
        .offset:         200
        .size:           8
        .value_kind:     global_buffer
      - .address_space:  global
        .offset:         208
        .size:           8
        .value_kind:     global_buffer
      - .address_space:  global
        .offset:         216
        .size:           8
        .value_kind:     global_buffer
      - .offset:         224
        .size:           4
        .value_kind:     hidden_block_count_x
      - .offset:         228
        .size:           4
        .value_kind:     hidden_block_count_y
      - .offset:         232
        .size:           4
        .value_kind:     hidden_block_count_z
      - .offset:         236
        .size:           2
        .value_kind:     hidden_group_size_x
      - .offset:         238
        .size:           2
        .value_kind:     hidden_group_size_y
      - .offset:         240
        .size:           2
        .value_kind:     hidden_group_size_z
      - .offset:         242
        .size:           2
        .value_kind:     hidden_remainder_x
      - .offset:         244
        .size:           2
        .value_kind:     hidden_remainder_y
      - .offset:         246
        .size:           2
        .value_kind:     hidden_remainder_z
      - .offset:         264
        .size:           8
        .value_kind:     hidden_global_offset_x
      - .offset:         272
        .size:           8
        .value_kind:     hidden_global_offset_y
      - .offset:         280
        .size:           8
        .value_kind:     hidden_global_offset_z
      - .offset:         288
        .size:           2
        .value_kind:     hidden_grid_dims
    .group_segment_fixed_size: 0
    .kernarg_segment_align: 8
    .kernarg_segment_size: 480
    .language:       OpenCL C
    .language_version:
      - 2
      - 0
    .max_flat_workgroup_size: 1024
    .name:           _ZL19k_bin_bcast_unravelIXadL_ZL6op_addffEE6__halfS0_S0_JPKS0_S2_S2_S2_S2_EEvPKT0_PKT1_PT2_15HIP_vector_typeIjLj3EESC_SC_jSC_SC_SC_SC_SC_SC_iiiiiiiiiiiDpT3_
    .private_segment_fixed_size: 0
    .sgpr_count:     30
    .sgpr_spill_count: 0
    .symbol:         _ZL19k_bin_bcast_unravelIXadL_ZL6op_addffEE6__halfS0_S0_JPKS0_S2_S2_S2_S2_EEvPKT0_PKT1_PT2_15HIP_vector_typeIjLj3EESC_SC_jSC_SC_SC_SC_SC_SC_iiiiiiiiiiiDpT3_.kd
    .uniform_work_group_size: 1
    .uses_dynamic_stack: false
    .vgpr_count:     13
    .vgpr_spill_count: 0
    .wavefront_size: 32
    .workgroup_processor_mode: 1
  - .args:
      - .address_space:  global
        .offset:         0
        .size:           8
        .value_kind:     global_buffer
      - .address_space:  global
        .offset:         8
        .size:           8
        .value_kind:     global_buffer
      - .address_space:  global
        .offset:         16
        .size:           8
        .value_kind:     global_buffer
      - .offset:         24
        .size:           4
        .value_kind:     by_value
      - .offset:         28
        .size:           4
        .value_kind:     by_value
      - .offset:         32
        .size:           4
        .value_kind:     by_value
      - .offset:         36
        .size:           12
        .value_kind:     by_value
      - .offset:         48
        .size:           12
        .value_kind:     by_value
      - .offset:         60
        .size:           12
        .value_kind:     by_value
      - .offset:         72
        .size:           12
        .value_kind:     by_value
      - .offset:         84
        .size:           12
        .value_kind:     by_value
      - .offset:         96
        .size:           4
        .value_kind:     by_value
      - .offset:         100
        .size:           4
        .value_kind:     by_value
      - .offset:         104
        .size:           4
        .value_kind:     by_value
      - .offset:         108
        .size:           4
        .value_kind:     by_value
      - .offset:         112
        .size:           4
        .value_kind:     by_value
      - .offset:         116
        .size:           4
        .value_kind:     by_value
      - .offset:         120
        .size:           4
        .value_kind:     by_value
      - .offset:         124
        .size:           4
        .value_kind:     by_value
      - .offset:         128
        .size:           4
        .value_kind:     by_value
      - .offset:         132
        .size:           4
        .value_kind:     by_value
      - .offset:         136
        .size:           4
        .value_kind:     by_value
      - .address_space:  global
        .offset:         144
        .size:           8
        .value_kind:     global_buffer
      - .address_space:  global
        .offset:         152
        .size:           8
        .value_kind:     global_buffer
      - .address_space:  global
        .offset:         160
        .size:           8
        .value_kind:     global_buffer
      - .address_space:  global
        .offset:         168
        .size:           8
        .value_kind:     global_buffer
      - .address_space:  global
        .offset:         176
        .size:           8
        .value_kind:     global_buffer
      - .offset:         184
        .size:           4
        .value_kind:     hidden_block_count_x
      - .offset:         188
        .size:           4
        .value_kind:     hidden_block_count_y
      - .offset:         192
        .size:           4
        .value_kind:     hidden_block_count_z
      - .offset:         196
        .size:           2
        .value_kind:     hidden_group_size_x
      - .offset:         198
        .size:           2
        .value_kind:     hidden_group_size_y
      - .offset:         200
        .size:           2
        .value_kind:     hidden_group_size_z
      - .offset:         202
        .size:           2
        .value_kind:     hidden_remainder_x
      - .offset:         204
        .size:           2
        .value_kind:     hidden_remainder_y
      - .offset:         206
        .size:           2
        .value_kind:     hidden_remainder_z
      - .offset:         224
        .size:           8
        .value_kind:     hidden_global_offset_x
      - .offset:         232
        .size:           8
        .value_kind:     hidden_global_offset_y
      - .offset:         240
        .size:           8
        .value_kind:     hidden_global_offset_z
      - .offset:         248
        .size:           2
        .value_kind:     hidden_grid_dims
    .group_segment_fixed_size: 0
    .kernarg_segment_align: 8
    .kernarg_segment_size: 440
    .language:       OpenCL C
    .language_version:
      - 2
      - 0
    .max_flat_workgroup_size: 1024
    .name:           _ZL11k_bin_bcastIXadL_ZL6op_addffEE6__halfS0_S0_JPKS0_S2_S2_S2_S2_EEvPKT0_PKT1_PT2_iii15HIP_vector_typeIjLj3EESC_SC_SC_SC_iiiiiiiiiiiDpT3_
    .private_segment_fixed_size: 0
    .sgpr_count:     38
    .sgpr_spill_count: 0
    .symbol:         _ZL11k_bin_bcastIXadL_ZL6op_addffEE6__halfS0_S0_JPKS0_S2_S2_S2_S2_EEvPKT0_PKT1_PT2_iii15HIP_vector_typeIjLj3EESC_SC_SC_SC_iiiiiiiiiiiDpT3_.kd
    .uniform_work_group_size: 1
    .uses_dynamic_stack: false
    .vgpr_count:     17
    .vgpr_spill_count: 0
    .wavefront_size: 32
    .workgroup_processor_mode: 1
  - .args:
      - .address_space:  global
        .offset:         0
        .size:           8
        .value_kind:     global_buffer
      - .address_space:  global
        .offset:         8
        .size:           8
        .value_kind:     global_buffer
      - .address_space:  global
        .offset:         16
        .size:           8
        .value_kind:     global_buffer
      - .offset:         24
        .size:           12
        .value_kind:     by_value
      - .offset:         36
        .size:           12
        .value_kind:     by_value
      - .offset:         48
        .size:           12
        .value_kind:     by_value
      - .offset:         60
        .size:           4
        .value_kind:     by_value
      - .offset:         64
        .size:           12
        .value_kind:     by_value
      - .offset:         76
        .size:           12
        .value_kind:     by_value
      - .offset:         88
        .size:           12
        .value_kind:     by_value
      - .offset:         100
        .size:           12
        .value_kind:     by_value
      - .offset:         112
        .size:           12
        .value_kind:     by_value
      - .offset:         124
        .size:           12
        .value_kind:     by_value
      - .offset:         136
        .size:           4
        .value_kind:     by_value
      - .offset:         140
        .size:           4
        .value_kind:     by_value
      - .offset:         144
        .size:           4
        .value_kind:     by_value
      - .offset:         148
        .size:           4
        .value_kind:     by_value
      - .offset:         152
        .size:           4
        .value_kind:     by_value
      - .offset:         156
        .size:           4
        .value_kind:     by_value
      - .offset:         160
        .size:           4
        .value_kind:     by_value
      - .offset:         164
        .size:           4
        .value_kind:     by_value
      - .offset:         168
        .size:           4
        .value_kind:     by_value
      - .offset:         172
        .size:           4
        .value_kind:     by_value
      - .offset:         176
        .size:           4
        .value_kind:     by_value
      - .address_space:  global
        .offset:         184
        .size:           8
        .value_kind:     global_buffer
      - .address_space:  global
        .offset:         192
        .size:           8
        .value_kind:     global_buffer
      - .address_space:  global
        .offset:         200
        .size:           8
        .value_kind:     global_buffer
      - .address_space:  global
        .offset:         208
        .size:           8
        .value_kind:     global_buffer
      - .address_space:  global
        .offset:         216
        .size:           8
        .value_kind:     global_buffer
      - .offset:         224
        .size:           4
        .value_kind:     hidden_block_count_x
      - .offset:         228
        .size:           4
        .value_kind:     hidden_block_count_y
      - .offset:         232
        .size:           4
        .value_kind:     hidden_block_count_z
      - .offset:         236
        .size:           2
        .value_kind:     hidden_group_size_x
      - .offset:         238
        .size:           2
        .value_kind:     hidden_group_size_y
      - .offset:         240
        .size:           2
        .value_kind:     hidden_group_size_z
      - .offset:         242
        .size:           2
        .value_kind:     hidden_remainder_x
      - .offset:         244
        .size:           2
        .value_kind:     hidden_remainder_y
      - .offset:         246
        .size:           2
        .value_kind:     hidden_remainder_z
      - .offset:         264
        .size:           8
        .value_kind:     hidden_global_offset_x
      - .offset:         272
        .size:           8
        .value_kind:     hidden_global_offset_y
      - .offset:         280
        .size:           8
        .value_kind:     hidden_global_offset_z
      - .offset:         288
        .size:           2
        .value_kind:     hidden_grid_dims
    .group_segment_fixed_size: 0
    .kernarg_segment_align: 8
    .kernarg_segment_size: 480
    .language:       OpenCL C
    .language_version:
      - 2
      - 0
    .max_flat_workgroup_size: 1024
    .name:           _ZL19k_bin_bcast_unravelIXadL_ZL6op_addffEE6__halffS0_JPKfS2_S2_S2_S2_EEvPKT0_PKT1_PT2_15HIP_vector_typeIjLj3EESC_SC_jSC_SC_SC_SC_SC_SC_iiiiiiiiiiiDpT3_
    .private_segment_fixed_size: 0
    .sgpr_count:     30
    .sgpr_spill_count: 0
    .symbol:         _ZL19k_bin_bcast_unravelIXadL_ZL6op_addffEE6__halffS0_JPKfS2_S2_S2_S2_EEvPKT0_PKT1_PT2_15HIP_vector_typeIjLj3EESC_SC_jSC_SC_SC_SC_SC_SC_iiiiiiiiiiiDpT3_.kd
    .uniform_work_group_size: 1
    .uses_dynamic_stack: false
    .vgpr_count:     13
    .vgpr_spill_count: 0
    .wavefront_size: 32
    .workgroup_processor_mode: 1
  - .args:
      - .address_space:  global
        .offset:         0
        .size:           8
        .value_kind:     global_buffer
      - .address_space:  global
        .offset:         8
        .size:           8
        .value_kind:     global_buffer
      - .address_space:  global
        .offset:         16
        .size:           8
        .value_kind:     global_buffer
      - .offset:         24
        .size:           4
        .value_kind:     by_value
      - .offset:         28
        .size:           4
        .value_kind:     by_value
      - .offset:         32
        .size:           4
        .value_kind:     by_value
      - .offset:         36
        .size:           12
        .value_kind:     by_value
      - .offset:         48
        .size:           12
        .value_kind:     by_value
      - .offset:         60
        .size:           12
        .value_kind:     by_value
      - .offset:         72
        .size:           12
        .value_kind:     by_value
      - .offset:         84
        .size:           12
        .value_kind:     by_value
      - .offset:         96
        .size:           4
        .value_kind:     by_value
      - .offset:         100
        .size:           4
        .value_kind:     by_value
      - .offset:         104
        .size:           4
        .value_kind:     by_value
      - .offset:         108
        .size:           4
        .value_kind:     by_value
      - .offset:         112
        .size:           4
        .value_kind:     by_value
      - .offset:         116
        .size:           4
        .value_kind:     by_value
      - .offset:         120
        .size:           4
        .value_kind:     by_value
      - .offset:         124
        .size:           4
        .value_kind:     by_value
      - .offset:         128
        .size:           4
        .value_kind:     by_value
      - .offset:         132
        .size:           4
        .value_kind:     by_value
      - .offset:         136
        .size:           4
        .value_kind:     by_value
      - .address_space:  global
        .offset:         144
        .size:           8
        .value_kind:     global_buffer
      - .address_space:  global
        .offset:         152
        .size:           8
        .value_kind:     global_buffer
      - .address_space:  global
        .offset:         160
        .size:           8
        .value_kind:     global_buffer
      - .address_space:  global
        .offset:         168
        .size:           8
        .value_kind:     global_buffer
      - .address_space:  global
        .offset:         176
        .size:           8
        .value_kind:     global_buffer
      - .offset:         184
        .size:           4
        .value_kind:     hidden_block_count_x
      - .offset:         188
        .size:           4
        .value_kind:     hidden_block_count_y
      - .offset:         192
        .size:           4
        .value_kind:     hidden_block_count_z
      - .offset:         196
        .size:           2
        .value_kind:     hidden_group_size_x
      - .offset:         198
        .size:           2
        .value_kind:     hidden_group_size_y
      - .offset:         200
        .size:           2
        .value_kind:     hidden_group_size_z
      - .offset:         202
        .size:           2
        .value_kind:     hidden_remainder_x
      - .offset:         204
        .size:           2
        .value_kind:     hidden_remainder_y
      - .offset:         206
        .size:           2
        .value_kind:     hidden_remainder_z
      - .offset:         224
        .size:           8
        .value_kind:     hidden_global_offset_x
      - .offset:         232
        .size:           8
        .value_kind:     hidden_global_offset_y
      - .offset:         240
        .size:           8
        .value_kind:     hidden_global_offset_z
      - .offset:         248
        .size:           2
        .value_kind:     hidden_grid_dims
    .group_segment_fixed_size: 0
    .kernarg_segment_align: 8
    .kernarg_segment_size: 440
    .language:       OpenCL C
    .language_version:
      - 2
      - 0
    .max_flat_workgroup_size: 1024
    .name:           _ZL11k_bin_bcastIXadL_ZL6op_addffEE6__halffS0_JPKfS2_S2_S2_S2_EEvPKT0_PKT1_PT2_iii15HIP_vector_typeIjLj3EESC_SC_SC_SC_iiiiiiiiiiiDpT3_
    .private_segment_fixed_size: 0
    .sgpr_count:     38
    .sgpr_spill_count: 0
    .symbol:         _ZL11k_bin_bcastIXadL_ZL6op_addffEE6__halffS0_JPKfS2_S2_S2_S2_EEvPKT0_PKT1_PT2_iii15HIP_vector_typeIjLj3EESC_SC_SC_SC_iiiiiiiiiiiDpT3_.kd
    .uniform_work_group_size: 1
    .uses_dynamic_stack: false
    .vgpr_count:     17
    .vgpr_spill_count: 0
    .wavefront_size: 32
    .workgroup_processor_mode: 1
  - .args:
      - .address_space:  global
        .offset:         0
        .size:           8
        .value_kind:     global_buffer
      - .address_space:  global
        .offset:         8
        .size:           8
        .value_kind:     global_buffer
      - .address_space:  global
        .offset:         16
        .size:           8
        .value_kind:     global_buffer
      - .offset:         24
        .size:           12
        .value_kind:     by_value
      - .offset:         36
        .size:           12
        .value_kind:     by_value
      - .offset:         48
        .size:           12
        .value_kind:     by_value
      - .offset:         60
        .size:           4
        .value_kind:     by_value
      - .offset:         64
        .size:           12
        .value_kind:     by_value
      - .offset:         76
        .size:           12
        .value_kind:     by_value
      - .offset:         88
        .size:           12
        .value_kind:     by_value
      - .offset:         100
        .size:           12
        .value_kind:     by_value
      - .offset:         112
        .size:           12
        .value_kind:     by_value
      - .offset:         124
        .size:           12
        .value_kind:     by_value
      - .offset:         136
        .size:           4
        .value_kind:     by_value
      - .offset:         140
        .size:           4
        .value_kind:     by_value
      - .offset:         144
        .size:           4
        .value_kind:     by_value
      - .offset:         148
        .size:           4
        .value_kind:     by_value
      - .offset:         152
        .size:           4
        .value_kind:     by_value
      - .offset:         156
        .size:           4
        .value_kind:     by_value
      - .offset:         160
        .size:           4
        .value_kind:     by_value
      - .offset:         164
        .size:           4
        .value_kind:     by_value
      - .offset:         168
        .size:           4
        .value_kind:     by_value
      - .offset:         172
        .size:           4
        .value_kind:     by_value
      - .offset:         176
        .size:           4
        .value_kind:     by_value
      - .address_space:  global
        .offset:         184
        .size:           8
        .value_kind:     global_buffer
      - .address_space:  global
        .offset:         192
        .size:           8
        .value_kind:     global_buffer
      - .address_space:  global
        .offset:         200
        .size:           8
        .value_kind:     global_buffer
      - .address_space:  global
        .offset:         208
        .size:           8
        .value_kind:     global_buffer
      - .address_space:  global
        .offset:         216
        .size:           8
        .value_kind:     global_buffer
      - .offset:         224
        .size:           4
        .value_kind:     hidden_block_count_x
      - .offset:         228
        .size:           4
        .value_kind:     hidden_block_count_y
      - .offset:         232
        .size:           4
        .value_kind:     hidden_block_count_z
      - .offset:         236
        .size:           2
        .value_kind:     hidden_group_size_x
      - .offset:         238
        .size:           2
        .value_kind:     hidden_group_size_y
      - .offset:         240
        .size:           2
        .value_kind:     hidden_group_size_z
      - .offset:         242
        .size:           2
        .value_kind:     hidden_remainder_x
      - .offset:         244
        .size:           2
        .value_kind:     hidden_remainder_y
      - .offset:         246
        .size:           2
        .value_kind:     hidden_remainder_z
      - .offset:         264
        .size:           8
        .value_kind:     hidden_global_offset_x
      - .offset:         272
        .size:           8
        .value_kind:     hidden_global_offset_y
      - .offset:         280
        .size:           8
        .value_kind:     hidden_global_offset_z
      - .offset:         288
        .size:           2
        .value_kind:     hidden_grid_dims
    .group_segment_fixed_size: 0
    .kernarg_segment_align: 8
    .kernarg_segment_size: 480
    .language:       OpenCL C
    .language_version:
      - 2
      - 0
    .max_flat_workgroup_size: 1024
    .name:           _ZL19k_bin_bcast_unravelIXadL_ZL6op_addffEE6__halfffJPKfS2_S2_S2_S2_EEvPKT0_PKT1_PT2_15HIP_vector_typeIjLj3EESC_SC_jSC_SC_SC_SC_SC_SC_iiiiiiiiiiiDpT3_
    .private_segment_fixed_size: 0
    .sgpr_count:     30
    .sgpr_spill_count: 0
    .symbol:         _ZL19k_bin_bcast_unravelIXadL_ZL6op_addffEE6__halfffJPKfS2_S2_S2_S2_EEvPKT0_PKT1_PT2_15HIP_vector_typeIjLj3EESC_SC_jSC_SC_SC_SC_SC_SC_iiiiiiiiiiiDpT3_.kd
    .uniform_work_group_size: 1
    .uses_dynamic_stack: false
    .vgpr_count:     13
    .vgpr_spill_count: 0
    .wavefront_size: 32
    .workgroup_processor_mode: 1
  - .args:
      - .address_space:  global
        .offset:         0
        .size:           8
        .value_kind:     global_buffer
      - .address_space:  global
        .offset:         8
        .size:           8
        .value_kind:     global_buffer
      - .address_space:  global
        .offset:         16
        .size:           8
        .value_kind:     global_buffer
      - .offset:         24
        .size:           4
        .value_kind:     by_value
      - .offset:         28
        .size:           4
        .value_kind:     by_value
      - .offset:         32
        .size:           4
        .value_kind:     by_value
      - .offset:         36
        .size:           12
        .value_kind:     by_value
      - .offset:         48
        .size:           12
        .value_kind:     by_value
      - .offset:         60
        .size:           12
        .value_kind:     by_value
      - .offset:         72
        .size:           12
        .value_kind:     by_value
      - .offset:         84
        .size:           12
        .value_kind:     by_value
      - .offset:         96
        .size:           4
        .value_kind:     by_value
      - .offset:         100
        .size:           4
        .value_kind:     by_value
      - .offset:         104
        .size:           4
        .value_kind:     by_value
      - .offset:         108
        .size:           4
        .value_kind:     by_value
      - .offset:         112
        .size:           4
        .value_kind:     by_value
      - .offset:         116
        .size:           4
        .value_kind:     by_value
      - .offset:         120
        .size:           4
        .value_kind:     by_value
      - .offset:         124
        .size:           4
        .value_kind:     by_value
      - .offset:         128
        .size:           4
        .value_kind:     by_value
      - .offset:         132
        .size:           4
        .value_kind:     by_value
      - .offset:         136
        .size:           4
        .value_kind:     by_value
      - .address_space:  global
        .offset:         144
        .size:           8
        .value_kind:     global_buffer
      - .address_space:  global
        .offset:         152
        .size:           8
        .value_kind:     global_buffer
      - .address_space:  global
        .offset:         160
        .size:           8
        .value_kind:     global_buffer
      - .address_space:  global
        .offset:         168
        .size:           8
        .value_kind:     global_buffer
      - .address_space:  global
        .offset:         176
        .size:           8
        .value_kind:     global_buffer
      - .offset:         184
        .size:           4
        .value_kind:     hidden_block_count_x
      - .offset:         188
        .size:           4
        .value_kind:     hidden_block_count_y
      - .offset:         192
        .size:           4
        .value_kind:     hidden_block_count_z
      - .offset:         196
        .size:           2
        .value_kind:     hidden_group_size_x
      - .offset:         198
        .size:           2
        .value_kind:     hidden_group_size_y
      - .offset:         200
        .size:           2
        .value_kind:     hidden_group_size_z
      - .offset:         202
        .size:           2
        .value_kind:     hidden_remainder_x
      - .offset:         204
        .size:           2
        .value_kind:     hidden_remainder_y
      - .offset:         206
        .size:           2
        .value_kind:     hidden_remainder_z
      - .offset:         224
        .size:           8
        .value_kind:     hidden_global_offset_x
      - .offset:         232
        .size:           8
        .value_kind:     hidden_global_offset_y
      - .offset:         240
        .size:           8
        .value_kind:     hidden_global_offset_z
      - .offset:         248
        .size:           2
        .value_kind:     hidden_grid_dims
    .group_segment_fixed_size: 0
    .kernarg_segment_align: 8
    .kernarg_segment_size: 440
    .language:       OpenCL C
    .language_version:
      - 2
      - 0
    .max_flat_workgroup_size: 1024
    .name:           _ZL11k_bin_bcastIXadL_ZL6op_addffEE6__halfffJPKfS2_S2_S2_S2_EEvPKT0_PKT1_PT2_iii15HIP_vector_typeIjLj3EESC_SC_SC_SC_iiiiiiiiiiiDpT3_
    .private_segment_fixed_size: 0
    .sgpr_count:     38
    .sgpr_spill_count: 0
    .symbol:         _ZL11k_bin_bcastIXadL_ZL6op_addffEE6__halfffJPKfS2_S2_S2_S2_EEvPKT0_PKT1_PT2_iii15HIP_vector_typeIjLj3EESC_SC_SC_SC_iiiiiiiiiiiDpT3_.kd
    .uniform_work_group_size: 1
    .uses_dynamic_stack: false
    .vgpr_count:     17
    .vgpr_spill_count: 0
    .wavefront_size: 32
    .workgroup_processor_mode: 1
  - .args:
      - .address_space:  global
        .offset:         0
        .size:           8
        .value_kind:     global_buffer
      - .address_space:  global
        .offset:         8
        .size:           8
        .value_kind:     global_buffer
      - .address_space:  global
        .offset:         16
        .size:           8
        .value_kind:     global_buffer
      - .offset:         24
        .size:           12
        .value_kind:     by_value
      - .offset:         36
        .size:           12
        .value_kind:     by_value
      - .offset:         48
        .size:           12
        .value_kind:     by_value
      - .offset:         60
        .size:           4
        .value_kind:     by_value
      - .offset:         64
        .size:           12
        .value_kind:     by_value
      - .offset:         76
        .size:           12
        .value_kind:     by_value
      - .offset:         88
        .size:           12
        .value_kind:     by_value
      - .offset:         100
        .size:           12
        .value_kind:     by_value
      - .offset:         112
        .size:           12
        .value_kind:     by_value
      - .offset:         124
        .size:           12
        .value_kind:     by_value
      - .offset:         136
        .size:           4
        .value_kind:     by_value
      - .offset:         140
        .size:           4
        .value_kind:     by_value
      - .offset:         144
        .size:           4
        .value_kind:     by_value
      - .offset:         148
        .size:           4
        .value_kind:     by_value
      - .offset:         152
        .size:           4
        .value_kind:     by_value
      - .offset:         156
        .size:           4
        .value_kind:     by_value
      - .offset:         160
        .size:           4
        .value_kind:     by_value
      - .offset:         164
        .size:           4
        .value_kind:     by_value
      - .offset:         168
        .size:           4
        .value_kind:     by_value
      - .offset:         172
        .size:           4
        .value_kind:     by_value
      - .offset:         176
        .size:           4
        .value_kind:     by_value
      - .address_space:  global
        .offset:         184
        .size:           8
        .value_kind:     global_buffer
      - .address_space:  global
        .offset:         192
        .size:           8
        .value_kind:     global_buffer
      - .address_space:  global
        .offset:         200
        .size:           8
        .value_kind:     global_buffer
      - .address_space:  global
        .offset:         208
        .size:           8
        .value_kind:     global_buffer
      - .address_space:  global
        .offset:         216
        .size:           8
        .value_kind:     global_buffer
      - .address_space:  global
        .offset:         224
        .size:           8
        .value_kind:     global_buffer
      - .offset:         232
        .size:           4
        .value_kind:     hidden_block_count_x
      - .offset:         236
        .size:           4
        .value_kind:     hidden_block_count_y
      - .offset:         240
        .size:           4
        .value_kind:     hidden_block_count_z
      - .offset:         244
        .size:           2
        .value_kind:     hidden_group_size_x
      - .offset:         246
        .size:           2
        .value_kind:     hidden_group_size_y
      - .offset:         248
        .size:           2
        .value_kind:     hidden_group_size_z
      - .offset:         250
        .size:           2
        .value_kind:     hidden_remainder_x
      - .offset:         252
        .size:           2
        .value_kind:     hidden_remainder_y
      - .offset:         254
        .size:           2
        .value_kind:     hidden_remainder_z
      - .offset:         272
        .size:           8
        .value_kind:     hidden_global_offset_x
      - .offset:         280
        .size:           8
        .value_kind:     hidden_global_offset_y
      - .offset:         288
        .size:           8
        .value_kind:     hidden_global_offset_z
      - .offset:         296
        .size:           2
        .value_kind:     hidden_grid_dims
    .group_segment_fixed_size: 0
    .kernarg_segment_align: 8
    .kernarg_segment_size: 488
    .language:       OpenCL C
    .language_version:
      - 2
      - 0
    .max_flat_workgroup_size: 1024
    .name:           _ZL19k_bin_bcast_unravelIXadL_ZL6op_addffEEfffJPKfS1_S1_S1_S1_S1_EEvPKT0_PKT1_PT2_15HIP_vector_typeIjLj3EESB_SB_jSB_SB_SB_SB_SB_SB_iiiiiiiiiiiDpT3_
    .private_segment_fixed_size: 0
    .sgpr_count:     30
    .sgpr_spill_count: 0
    .symbol:         _ZL19k_bin_bcast_unravelIXadL_ZL6op_addffEEfffJPKfS1_S1_S1_S1_S1_EEvPKT0_PKT1_PT2_15HIP_vector_typeIjLj3EESB_SB_jSB_SB_SB_SB_SB_SB_iiiiiiiiiiiDpT3_.kd
    .uniform_work_group_size: 1
    .uses_dynamic_stack: false
    .vgpr_count:     14
    .vgpr_spill_count: 0
    .wavefront_size: 32
    .workgroup_processor_mode: 1
  - .args:
      - .address_space:  global
        .offset:         0
        .size:           8
        .value_kind:     global_buffer
      - .address_space:  global
        .offset:         8
        .size:           8
        .value_kind:     global_buffer
      - .address_space:  global
        .offset:         16
        .size:           8
        .value_kind:     global_buffer
      - .offset:         24
        .size:           4
        .value_kind:     by_value
      - .offset:         28
        .size:           4
        .value_kind:     by_value
      - .offset:         32
        .size:           4
        .value_kind:     by_value
      - .offset:         36
        .size:           12
        .value_kind:     by_value
      - .offset:         48
        .size:           12
        .value_kind:     by_value
      - .offset:         60
        .size:           12
        .value_kind:     by_value
      - .offset:         72
        .size:           12
        .value_kind:     by_value
      - .offset:         84
        .size:           12
        .value_kind:     by_value
      - .offset:         96
        .size:           4
        .value_kind:     by_value
      - .offset:         100
        .size:           4
        .value_kind:     by_value
      - .offset:         104
        .size:           4
        .value_kind:     by_value
      - .offset:         108
        .size:           4
        .value_kind:     by_value
      - .offset:         112
        .size:           4
        .value_kind:     by_value
      - .offset:         116
        .size:           4
        .value_kind:     by_value
      - .offset:         120
        .size:           4
        .value_kind:     by_value
      - .offset:         124
        .size:           4
        .value_kind:     by_value
      - .offset:         128
        .size:           4
        .value_kind:     by_value
      - .offset:         132
        .size:           4
        .value_kind:     by_value
      - .offset:         136
        .size:           4
        .value_kind:     by_value
      - .address_space:  global
        .offset:         144
        .size:           8
        .value_kind:     global_buffer
      - .address_space:  global
        .offset:         152
        .size:           8
        .value_kind:     global_buffer
      - .address_space:  global
        .offset:         160
        .size:           8
        .value_kind:     global_buffer
      - .address_space:  global
        .offset:         168
        .size:           8
        .value_kind:     global_buffer
      - .address_space:  global
        .offset:         176
        .size:           8
        .value_kind:     global_buffer
      - .address_space:  global
        .offset:         184
        .size:           8
        .value_kind:     global_buffer
      - .offset:         192
        .size:           4
        .value_kind:     hidden_block_count_x
      - .offset:         196
        .size:           4
        .value_kind:     hidden_block_count_y
      - .offset:         200
        .size:           4
        .value_kind:     hidden_block_count_z
      - .offset:         204
        .size:           2
        .value_kind:     hidden_group_size_x
      - .offset:         206
        .size:           2
        .value_kind:     hidden_group_size_y
      - .offset:         208
        .size:           2
        .value_kind:     hidden_group_size_z
      - .offset:         210
        .size:           2
        .value_kind:     hidden_remainder_x
      - .offset:         212
        .size:           2
        .value_kind:     hidden_remainder_y
      - .offset:         214
        .size:           2
        .value_kind:     hidden_remainder_z
      - .offset:         232
        .size:           8
        .value_kind:     hidden_global_offset_x
      - .offset:         240
        .size:           8
        .value_kind:     hidden_global_offset_y
      - .offset:         248
        .size:           8
        .value_kind:     hidden_global_offset_z
      - .offset:         256
        .size:           2
        .value_kind:     hidden_grid_dims
    .group_segment_fixed_size: 0
    .kernarg_segment_align: 8
    .kernarg_segment_size: 448
    .language:       OpenCL C
    .language_version:
      - 2
      - 0
    .max_flat_workgroup_size: 1024
    .name:           _ZL11k_bin_bcastIXadL_ZL6op_addffEEfffJPKfS1_S1_S1_S1_S1_EEvPKT0_PKT1_PT2_iii15HIP_vector_typeIjLj3EESB_SB_SB_SB_iiiiiiiiiiiDpT3_
    .private_segment_fixed_size: 0
    .sgpr_count:     42
    .sgpr_spill_count: 0
    .symbol:         _ZL11k_bin_bcastIXadL_ZL6op_addffEEfffJPKfS1_S1_S1_S1_S1_EEvPKT0_PKT1_PT2_iii15HIP_vector_typeIjLj3EESB_SB_SB_SB_iiiiiiiiiiiDpT3_.kd
    .uniform_work_group_size: 1
    .uses_dynamic_stack: false
    .vgpr_count:     17
    .vgpr_spill_count: 0
    .wavefront_size: 32
    .workgroup_processor_mode: 1
  - .args:
      - .address_space:  global
        .offset:         0
        .size:           8
        .value_kind:     global_buffer
      - .address_space:  global
        .offset:         8
        .size:           8
        .value_kind:     global_buffer
      - .address_space:  global
        .offset:         16
        .size:           8
        .value_kind:     global_buffer
      - .offset:         24
        .size:           12
        .value_kind:     by_value
      - .offset:         36
        .size:           12
        .value_kind:     by_value
      - .offset:         48
        .size:           12
        .value_kind:     by_value
      - .offset:         60
        .size:           4
        .value_kind:     by_value
      - .offset:         64
        .size:           12
        .value_kind:     by_value
      - .offset:         76
        .size:           12
        .value_kind:     by_value
      - .offset:         88
        .size:           12
        .value_kind:     by_value
      - .offset:         100
        .size:           12
        .value_kind:     by_value
      - .offset:         112
        .size:           12
        .value_kind:     by_value
      - .offset:         124
        .size:           12
        .value_kind:     by_value
      - .offset:         136
        .size:           4
        .value_kind:     by_value
      - .offset:         140
        .size:           4
        .value_kind:     by_value
      - .offset:         144
        .size:           4
        .value_kind:     by_value
      - .offset:         148
        .size:           4
        .value_kind:     by_value
      - .offset:         152
        .size:           4
        .value_kind:     by_value
      - .offset:         156
        .size:           4
        .value_kind:     by_value
      - .offset:         160
        .size:           4
        .value_kind:     by_value
      - .offset:         164
        .size:           4
        .value_kind:     by_value
      - .offset:         168
        .size:           4
        .value_kind:     by_value
      - .offset:         172
        .size:           4
        .value_kind:     by_value
      - .offset:         176
        .size:           4
        .value_kind:     by_value
      - .address_space:  global
        .offset:         184
        .size:           8
        .value_kind:     global_buffer
      - .address_space:  global
        .offset:         192
        .size:           8
        .value_kind:     global_buffer
      - .address_space:  global
        .offset:         200
        .size:           8
        .value_kind:     global_buffer
      - .address_space:  global
        .offset:         208
        .size:           8
        .value_kind:     global_buffer
      - .address_space:  global
        .offset:         216
        .size:           8
        .value_kind:     global_buffer
      - .address_space:  global
        .offset:         224
        .size:           8
        .value_kind:     global_buffer
      - .offset:         232
        .size:           4
        .value_kind:     hidden_block_count_x
      - .offset:         236
        .size:           4
        .value_kind:     hidden_block_count_y
      - .offset:         240
        .size:           4
        .value_kind:     hidden_block_count_z
      - .offset:         244
        .size:           2
        .value_kind:     hidden_group_size_x
      - .offset:         246
        .size:           2
        .value_kind:     hidden_group_size_y
      - .offset:         248
        .size:           2
        .value_kind:     hidden_group_size_z
      - .offset:         250
        .size:           2
        .value_kind:     hidden_remainder_x
      - .offset:         252
        .size:           2
        .value_kind:     hidden_remainder_y
      - .offset:         254
        .size:           2
        .value_kind:     hidden_remainder_z
      - .offset:         272
        .size:           8
        .value_kind:     hidden_global_offset_x
      - .offset:         280
        .size:           8
        .value_kind:     hidden_global_offset_y
      - .offset:         288
        .size:           8
        .value_kind:     hidden_global_offset_z
      - .offset:         296
        .size:           2
        .value_kind:     hidden_grid_dims
    .group_segment_fixed_size: 0
    .kernarg_segment_align: 8
    .kernarg_segment_size: 488
    .language:       OpenCL C
    .language_version:
      - 2
      - 0
    .max_flat_workgroup_size: 1024
    .name:           _ZL19k_bin_bcast_unravelIXadL_ZL6op_addffEE6__halfS0_S0_JPKS0_S2_S2_S2_S2_S2_EEvPKT0_PKT1_PT2_15HIP_vector_typeIjLj3EESC_SC_jSC_SC_SC_SC_SC_SC_iiiiiiiiiiiDpT3_
    .private_segment_fixed_size: 0
    .sgpr_count:     30
    .sgpr_spill_count: 0
    .symbol:         _ZL19k_bin_bcast_unravelIXadL_ZL6op_addffEE6__halfS0_S0_JPKS0_S2_S2_S2_S2_S2_EEvPKT0_PKT1_PT2_15HIP_vector_typeIjLj3EESC_SC_jSC_SC_SC_SC_SC_SC_iiiiiiiiiiiDpT3_.kd
    .uniform_work_group_size: 1
    .uses_dynamic_stack: false
    .vgpr_count:     14
    .vgpr_spill_count: 0
    .wavefront_size: 32
    .workgroup_processor_mode: 1
  - .args:
      - .address_space:  global
        .offset:         0
        .size:           8
        .value_kind:     global_buffer
      - .address_space:  global
        .offset:         8
        .size:           8
        .value_kind:     global_buffer
      - .address_space:  global
        .offset:         16
        .size:           8
        .value_kind:     global_buffer
      - .offset:         24
        .size:           4
        .value_kind:     by_value
      - .offset:         28
        .size:           4
        .value_kind:     by_value
      - .offset:         32
        .size:           4
        .value_kind:     by_value
      - .offset:         36
        .size:           12
        .value_kind:     by_value
      - .offset:         48
        .size:           12
        .value_kind:     by_value
      - .offset:         60
        .size:           12
        .value_kind:     by_value
      - .offset:         72
        .size:           12
        .value_kind:     by_value
      - .offset:         84
        .size:           12
        .value_kind:     by_value
      - .offset:         96
        .size:           4
        .value_kind:     by_value
      - .offset:         100
        .size:           4
        .value_kind:     by_value
      - .offset:         104
        .size:           4
        .value_kind:     by_value
      - .offset:         108
        .size:           4
        .value_kind:     by_value
      - .offset:         112
        .size:           4
        .value_kind:     by_value
      - .offset:         116
        .size:           4
        .value_kind:     by_value
      - .offset:         120
        .size:           4
        .value_kind:     by_value
      - .offset:         124
        .size:           4
        .value_kind:     by_value
      - .offset:         128
        .size:           4
        .value_kind:     by_value
      - .offset:         132
        .size:           4
        .value_kind:     by_value
      - .offset:         136
        .size:           4
        .value_kind:     by_value
      - .address_space:  global
        .offset:         144
        .size:           8
        .value_kind:     global_buffer
      - .address_space:  global
        .offset:         152
        .size:           8
        .value_kind:     global_buffer
      - .address_space:  global
        .offset:         160
        .size:           8
        .value_kind:     global_buffer
      - .address_space:  global
        .offset:         168
        .size:           8
        .value_kind:     global_buffer
      - .address_space:  global
        .offset:         176
        .size:           8
        .value_kind:     global_buffer
      - .address_space:  global
        .offset:         184
        .size:           8
        .value_kind:     global_buffer
      - .offset:         192
        .size:           4
        .value_kind:     hidden_block_count_x
      - .offset:         196
        .size:           4
        .value_kind:     hidden_block_count_y
      - .offset:         200
        .size:           4
        .value_kind:     hidden_block_count_z
      - .offset:         204
        .size:           2
        .value_kind:     hidden_group_size_x
      - .offset:         206
        .size:           2
        .value_kind:     hidden_group_size_y
      - .offset:         208
        .size:           2
        .value_kind:     hidden_group_size_z
      - .offset:         210
        .size:           2
        .value_kind:     hidden_remainder_x
      - .offset:         212
        .size:           2
        .value_kind:     hidden_remainder_y
      - .offset:         214
        .size:           2
        .value_kind:     hidden_remainder_z
      - .offset:         232
        .size:           8
        .value_kind:     hidden_global_offset_x
      - .offset:         240
        .size:           8
        .value_kind:     hidden_global_offset_y
      - .offset:         248
        .size:           8
        .value_kind:     hidden_global_offset_z
      - .offset:         256
        .size:           2
        .value_kind:     hidden_grid_dims
    .group_segment_fixed_size: 0
    .kernarg_segment_align: 8
    .kernarg_segment_size: 448
    .language:       OpenCL C
    .language_version:
      - 2
      - 0
    .max_flat_workgroup_size: 1024
    .name:           _ZL11k_bin_bcastIXadL_ZL6op_addffEE6__halfS0_S0_JPKS0_S2_S2_S2_S2_S2_EEvPKT0_PKT1_PT2_iii15HIP_vector_typeIjLj3EESC_SC_SC_SC_iiiiiiiiiiiDpT3_
    .private_segment_fixed_size: 0
    .sgpr_count:     42
    .sgpr_spill_count: 0
    .symbol:         _ZL11k_bin_bcastIXadL_ZL6op_addffEE6__halfS0_S0_JPKS0_S2_S2_S2_S2_S2_EEvPKT0_PKT1_PT2_iii15HIP_vector_typeIjLj3EESC_SC_SC_SC_iiiiiiiiiiiDpT3_.kd
    .uniform_work_group_size: 1
    .uses_dynamic_stack: false
    .vgpr_count:     17
    .vgpr_spill_count: 0
    .wavefront_size: 32
    .workgroup_processor_mode: 1
  - .args:
      - .address_space:  global
        .offset:         0
        .size:           8
        .value_kind:     global_buffer
      - .address_space:  global
        .offset:         8
        .size:           8
        .value_kind:     global_buffer
      - .address_space:  global
        .offset:         16
        .size:           8
        .value_kind:     global_buffer
      - .offset:         24
        .size:           12
        .value_kind:     by_value
      - .offset:         36
        .size:           12
        .value_kind:     by_value
      - .offset:         48
        .size:           12
        .value_kind:     by_value
      - .offset:         60
        .size:           4
        .value_kind:     by_value
      - .offset:         64
        .size:           12
        .value_kind:     by_value
      - .offset:         76
        .size:           12
        .value_kind:     by_value
      - .offset:         88
        .size:           12
        .value_kind:     by_value
      - .offset:         100
        .size:           12
        .value_kind:     by_value
      - .offset:         112
        .size:           12
        .value_kind:     by_value
      - .offset:         124
        .size:           12
        .value_kind:     by_value
      - .offset:         136
        .size:           4
        .value_kind:     by_value
      - .offset:         140
        .size:           4
        .value_kind:     by_value
      - .offset:         144
        .size:           4
        .value_kind:     by_value
      - .offset:         148
        .size:           4
        .value_kind:     by_value
      - .offset:         152
        .size:           4
        .value_kind:     by_value
      - .offset:         156
        .size:           4
        .value_kind:     by_value
      - .offset:         160
        .size:           4
        .value_kind:     by_value
      - .offset:         164
        .size:           4
        .value_kind:     by_value
      - .offset:         168
        .size:           4
        .value_kind:     by_value
      - .offset:         172
        .size:           4
        .value_kind:     by_value
      - .offset:         176
        .size:           4
        .value_kind:     by_value
      - .address_space:  global
        .offset:         184
        .size:           8
        .value_kind:     global_buffer
      - .address_space:  global
        .offset:         192
        .size:           8
        .value_kind:     global_buffer
      - .address_space:  global
        .offset:         200
        .size:           8
        .value_kind:     global_buffer
      - .address_space:  global
        .offset:         208
        .size:           8
        .value_kind:     global_buffer
      - .address_space:  global
        .offset:         216
        .size:           8
        .value_kind:     global_buffer
      - .address_space:  global
        .offset:         224
        .size:           8
        .value_kind:     global_buffer
      - .offset:         232
        .size:           4
        .value_kind:     hidden_block_count_x
      - .offset:         236
        .size:           4
        .value_kind:     hidden_block_count_y
      - .offset:         240
        .size:           4
        .value_kind:     hidden_block_count_z
      - .offset:         244
        .size:           2
        .value_kind:     hidden_group_size_x
      - .offset:         246
        .size:           2
        .value_kind:     hidden_group_size_y
      - .offset:         248
        .size:           2
        .value_kind:     hidden_group_size_z
      - .offset:         250
        .size:           2
        .value_kind:     hidden_remainder_x
      - .offset:         252
        .size:           2
        .value_kind:     hidden_remainder_y
      - .offset:         254
        .size:           2
        .value_kind:     hidden_remainder_z
      - .offset:         272
        .size:           8
        .value_kind:     hidden_global_offset_x
      - .offset:         280
        .size:           8
        .value_kind:     hidden_global_offset_y
      - .offset:         288
        .size:           8
        .value_kind:     hidden_global_offset_z
      - .offset:         296
        .size:           2
        .value_kind:     hidden_grid_dims
    .group_segment_fixed_size: 0
    .kernarg_segment_align: 8
    .kernarg_segment_size: 488
    .language:       OpenCL C
    .language_version:
      - 2
      - 0
    .max_flat_workgroup_size: 1024
    .name:           _ZL19k_bin_bcast_unravelIXadL_ZL6op_addffEE6__halffS0_JPKfS2_S2_S2_S2_S2_EEvPKT0_PKT1_PT2_15HIP_vector_typeIjLj3EESC_SC_jSC_SC_SC_SC_SC_SC_iiiiiiiiiiiDpT3_
    .private_segment_fixed_size: 0
    .sgpr_count:     30
    .sgpr_spill_count: 0
    .symbol:         _ZL19k_bin_bcast_unravelIXadL_ZL6op_addffEE6__halffS0_JPKfS2_S2_S2_S2_S2_EEvPKT0_PKT1_PT2_15HIP_vector_typeIjLj3EESC_SC_jSC_SC_SC_SC_SC_SC_iiiiiiiiiiiDpT3_.kd
    .uniform_work_group_size: 1
    .uses_dynamic_stack: false
    .vgpr_count:     14
    .vgpr_spill_count: 0
    .wavefront_size: 32
    .workgroup_processor_mode: 1
  - .args:
      - .address_space:  global
        .offset:         0
        .size:           8
        .value_kind:     global_buffer
      - .address_space:  global
        .offset:         8
        .size:           8
        .value_kind:     global_buffer
      - .address_space:  global
        .offset:         16
        .size:           8
        .value_kind:     global_buffer
      - .offset:         24
        .size:           4
        .value_kind:     by_value
      - .offset:         28
        .size:           4
        .value_kind:     by_value
      - .offset:         32
        .size:           4
        .value_kind:     by_value
      - .offset:         36
        .size:           12
        .value_kind:     by_value
      - .offset:         48
        .size:           12
        .value_kind:     by_value
      - .offset:         60
        .size:           12
        .value_kind:     by_value
      - .offset:         72
        .size:           12
        .value_kind:     by_value
      - .offset:         84
        .size:           12
        .value_kind:     by_value
      - .offset:         96
        .size:           4
        .value_kind:     by_value
      - .offset:         100
        .size:           4
        .value_kind:     by_value
      - .offset:         104
        .size:           4
        .value_kind:     by_value
      - .offset:         108
        .size:           4
        .value_kind:     by_value
      - .offset:         112
        .size:           4
        .value_kind:     by_value
      - .offset:         116
        .size:           4
        .value_kind:     by_value
      - .offset:         120
        .size:           4
        .value_kind:     by_value
      - .offset:         124
        .size:           4
        .value_kind:     by_value
      - .offset:         128
        .size:           4
        .value_kind:     by_value
      - .offset:         132
        .size:           4
        .value_kind:     by_value
      - .offset:         136
        .size:           4
        .value_kind:     by_value
      - .address_space:  global
        .offset:         144
        .size:           8
        .value_kind:     global_buffer
      - .address_space:  global
        .offset:         152
        .size:           8
        .value_kind:     global_buffer
      - .address_space:  global
        .offset:         160
        .size:           8
        .value_kind:     global_buffer
      - .address_space:  global
        .offset:         168
        .size:           8
        .value_kind:     global_buffer
      - .address_space:  global
        .offset:         176
        .size:           8
        .value_kind:     global_buffer
      - .address_space:  global
        .offset:         184
        .size:           8
        .value_kind:     global_buffer
      - .offset:         192
        .size:           4
        .value_kind:     hidden_block_count_x
      - .offset:         196
        .size:           4
        .value_kind:     hidden_block_count_y
      - .offset:         200
        .size:           4
        .value_kind:     hidden_block_count_z
      - .offset:         204
        .size:           2
        .value_kind:     hidden_group_size_x
      - .offset:         206
        .size:           2
        .value_kind:     hidden_group_size_y
      - .offset:         208
        .size:           2
        .value_kind:     hidden_group_size_z
      - .offset:         210
        .size:           2
        .value_kind:     hidden_remainder_x
      - .offset:         212
        .size:           2
        .value_kind:     hidden_remainder_y
      - .offset:         214
        .size:           2
        .value_kind:     hidden_remainder_z
      - .offset:         232
        .size:           8
        .value_kind:     hidden_global_offset_x
      - .offset:         240
        .size:           8
        .value_kind:     hidden_global_offset_y
      - .offset:         248
        .size:           8
        .value_kind:     hidden_global_offset_z
      - .offset:         256
        .size:           2
        .value_kind:     hidden_grid_dims
    .group_segment_fixed_size: 0
    .kernarg_segment_align: 8
    .kernarg_segment_size: 448
    .language:       OpenCL C
    .language_version:
      - 2
      - 0
    .max_flat_workgroup_size: 1024
    .name:           _ZL11k_bin_bcastIXadL_ZL6op_addffEE6__halffS0_JPKfS2_S2_S2_S2_S2_EEvPKT0_PKT1_PT2_iii15HIP_vector_typeIjLj3EESC_SC_SC_SC_iiiiiiiiiiiDpT3_
    .private_segment_fixed_size: 0
    .sgpr_count:     42
    .sgpr_spill_count: 0
    .symbol:         _ZL11k_bin_bcastIXadL_ZL6op_addffEE6__halffS0_JPKfS2_S2_S2_S2_S2_EEvPKT0_PKT1_PT2_iii15HIP_vector_typeIjLj3EESC_SC_SC_SC_iiiiiiiiiiiDpT3_.kd
    .uniform_work_group_size: 1
    .uses_dynamic_stack: false
    .vgpr_count:     17
    .vgpr_spill_count: 0
    .wavefront_size: 32
    .workgroup_processor_mode: 1
  - .args:
      - .address_space:  global
        .offset:         0
        .size:           8
        .value_kind:     global_buffer
      - .address_space:  global
        .offset:         8
        .size:           8
        .value_kind:     global_buffer
      - .address_space:  global
        .offset:         16
        .size:           8
        .value_kind:     global_buffer
      - .offset:         24
        .size:           12
        .value_kind:     by_value
      - .offset:         36
        .size:           12
        .value_kind:     by_value
      - .offset:         48
        .size:           12
        .value_kind:     by_value
      - .offset:         60
        .size:           4
        .value_kind:     by_value
      - .offset:         64
        .size:           12
        .value_kind:     by_value
      - .offset:         76
        .size:           12
        .value_kind:     by_value
      - .offset:         88
        .size:           12
        .value_kind:     by_value
      - .offset:         100
        .size:           12
        .value_kind:     by_value
      - .offset:         112
        .size:           12
        .value_kind:     by_value
      - .offset:         124
        .size:           12
        .value_kind:     by_value
      - .offset:         136
        .size:           4
        .value_kind:     by_value
      - .offset:         140
        .size:           4
        .value_kind:     by_value
      - .offset:         144
        .size:           4
        .value_kind:     by_value
      - .offset:         148
        .size:           4
        .value_kind:     by_value
      - .offset:         152
        .size:           4
        .value_kind:     by_value
      - .offset:         156
        .size:           4
        .value_kind:     by_value
      - .offset:         160
        .size:           4
        .value_kind:     by_value
      - .offset:         164
        .size:           4
        .value_kind:     by_value
      - .offset:         168
        .size:           4
        .value_kind:     by_value
      - .offset:         172
        .size:           4
        .value_kind:     by_value
      - .offset:         176
        .size:           4
        .value_kind:     by_value
      - .address_space:  global
        .offset:         184
        .size:           8
        .value_kind:     global_buffer
      - .address_space:  global
        .offset:         192
        .size:           8
        .value_kind:     global_buffer
      - .address_space:  global
        .offset:         200
        .size:           8
        .value_kind:     global_buffer
      - .address_space:  global
        .offset:         208
        .size:           8
        .value_kind:     global_buffer
      - .address_space:  global
        .offset:         216
        .size:           8
        .value_kind:     global_buffer
      - .address_space:  global
        .offset:         224
        .size:           8
        .value_kind:     global_buffer
      - .offset:         232
        .size:           4
        .value_kind:     hidden_block_count_x
      - .offset:         236
        .size:           4
        .value_kind:     hidden_block_count_y
      - .offset:         240
        .size:           4
        .value_kind:     hidden_block_count_z
      - .offset:         244
        .size:           2
        .value_kind:     hidden_group_size_x
      - .offset:         246
        .size:           2
        .value_kind:     hidden_group_size_y
      - .offset:         248
        .size:           2
        .value_kind:     hidden_group_size_z
      - .offset:         250
        .size:           2
        .value_kind:     hidden_remainder_x
      - .offset:         252
        .size:           2
        .value_kind:     hidden_remainder_y
      - .offset:         254
        .size:           2
        .value_kind:     hidden_remainder_z
      - .offset:         272
        .size:           8
        .value_kind:     hidden_global_offset_x
      - .offset:         280
        .size:           8
        .value_kind:     hidden_global_offset_y
      - .offset:         288
        .size:           8
        .value_kind:     hidden_global_offset_z
      - .offset:         296
        .size:           2
        .value_kind:     hidden_grid_dims
    .group_segment_fixed_size: 0
    .kernarg_segment_align: 8
    .kernarg_segment_size: 488
    .language:       OpenCL C
    .language_version:
      - 2
      - 0
    .max_flat_workgroup_size: 1024
    .name:           _ZL19k_bin_bcast_unravelIXadL_ZL6op_addffEE6__halfffJPKfS2_S2_S2_S2_S2_EEvPKT0_PKT1_PT2_15HIP_vector_typeIjLj3EESC_SC_jSC_SC_SC_SC_SC_SC_iiiiiiiiiiiDpT3_
    .private_segment_fixed_size: 0
    .sgpr_count:     30
    .sgpr_spill_count: 0
    .symbol:         _ZL19k_bin_bcast_unravelIXadL_ZL6op_addffEE6__halfffJPKfS2_S2_S2_S2_S2_EEvPKT0_PKT1_PT2_15HIP_vector_typeIjLj3EESC_SC_jSC_SC_SC_SC_SC_SC_iiiiiiiiiiiDpT3_.kd
    .uniform_work_group_size: 1
    .uses_dynamic_stack: false
    .vgpr_count:     14
    .vgpr_spill_count: 0
    .wavefront_size: 32
    .workgroup_processor_mode: 1
  - .args:
      - .address_space:  global
        .offset:         0
        .size:           8
        .value_kind:     global_buffer
      - .address_space:  global
        .offset:         8
        .size:           8
        .value_kind:     global_buffer
      - .address_space:  global
        .offset:         16
        .size:           8
        .value_kind:     global_buffer
      - .offset:         24
        .size:           4
        .value_kind:     by_value
      - .offset:         28
        .size:           4
        .value_kind:     by_value
      - .offset:         32
        .size:           4
        .value_kind:     by_value
      - .offset:         36
        .size:           12
        .value_kind:     by_value
      - .offset:         48
        .size:           12
        .value_kind:     by_value
      - .offset:         60
        .size:           12
        .value_kind:     by_value
      - .offset:         72
        .size:           12
        .value_kind:     by_value
      - .offset:         84
        .size:           12
        .value_kind:     by_value
      - .offset:         96
        .size:           4
        .value_kind:     by_value
      - .offset:         100
        .size:           4
        .value_kind:     by_value
      - .offset:         104
        .size:           4
        .value_kind:     by_value
      - .offset:         108
        .size:           4
        .value_kind:     by_value
      - .offset:         112
        .size:           4
        .value_kind:     by_value
      - .offset:         116
        .size:           4
        .value_kind:     by_value
      - .offset:         120
        .size:           4
        .value_kind:     by_value
      - .offset:         124
        .size:           4
        .value_kind:     by_value
      - .offset:         128
        .size:           4
        .value_kind:     by_value
      - .offset:         132
        .size:           4
        .value_kind:     by_value
      - .offset:         136
        .size:           4
        .value_kind:     by_value
      - .address_space:  global
        .offset:         144
        .size:           8
        .value_kind:     global_buffer
      - .address_space:  global
        .offset:         152
        .size:           8
        .value_kind:     global_buffer
      - .address_space:  global
        .offset:         160
        .size:           8
        .value_kind:     global_buffer
      - .address_space:  global
        .offset:         168
        .size:           8
        .value_kind:     global_buffer
      - .address_space:  global
        .offset:         176
        .size:           8
        .value_kind:     global_buffer
      - .address_space:  global
        .offset:         184
        .size:           8
        .value_kind:     global_buffer
      - .offset:         192
        .size:           4
        .value_kind:     hidden_block_count_x
      - .offset:         196
        .size:           4
        .value_kind:     hidden_block_count_y
      - .offset:         200
        .size:           4
        .value_kind:     hidden_block_count_z
      - .offset:         204
        .size:           2
        .value_kind:     hidden_group_size_x
      - .offset:         206
        .size:           2
        .value_kind:     hidden_group_size_y
      - .offset:         208
        .size:           2
        .value_kind:     hidden_group_size_z
      - .offset:         210
        .size:           2
        .value_kind:     hidden_remainder_x
      - .offset:         212
        .size:           2
        .value_kind:     hidden_remainder_y
      - .offset:         214
        .size:           2
        .value_kind:     hidden_remainder_z
      - .offset:         232
        .size:           8
        .value_kind:     hidden_global_offset_x
      - .offset:         240
        .size:           8
        .value_kind:     hidden_global_offset_y
      - .offset:         248
        .size:           8
        .value_kind:     hidden_global_offset_z
      - .offset:         256
        .size:           2
        .value_kind:     hidden_grid_dims
    .group_segment_fixed_size: 0
    .kernarg_segment_align: 8
    .kernarg_segment_size: 448
    .language:       OpenCL C
    .language_version:
      - 2
      - 0
    .max_flat_workgroup_size: 1024
    .name:           _ZL11k_bin_bcastIXadL_ZL6op_addffEE6__halfffJPKfS2_S2_S2_S2_S2_EEvPKT0_PKT1_PT2_iii15HIP_vector_typeIjLj3EESC_SC_SC_SC_iiiiiiiiiiiDpT3_
    .private_segment_fixed_size: 0
    .sgpr_count:     42
    .sgpr_spill_count: 0
    .symbol:         _ZL11k_bin_bcastIXadL_ZL6op_addffEE6__halfffJPKfS2_S2_S2_S2_S2_EEvPKT0_PKT1_PT2_iii15HIP_vector_typeIjLj3EESC_SC_SC_SC_iiiiiiiiiiiDpT3_.kd
    .uniform_work_group_size: 1
    .uses_dynamic_stack: false
    .vgpr_count:     17
    .vgpr_spill_count: 0
    .wavefront_size: 32
    .workgroup_processor_mode: 1
  - .args:
      - .address_space:  global
        .offset:         0
        .size:           8
        .value_kind:     global_buffer
      - .address_space:  global
        .offset:         8
        .size:           8
        .value_kind:     global_buffer
      - .address_space:  global
        .offset:         16
        .size:           8
        .value_kind:     global_buffer
      - .offset:         24
        .size:           12
        .value_kind:     by_value
      - .offset:         36
        .size:           12
        .value_kind:     by_value
      - .offset:         48
        .size:           12
        .value_kind:     by_value
      - .offset:         60
        .size:           4
        .value_kind:     by_value
      - .offset:         64
        .size:           12
        .value_kind:     by_value
      - .offset:         76
        .size:           12
        .value_kind:     by_value
      - .offset:         88
        .size:           12
        .value_kind:     by_value
      - .offset:         100
        .size:           12
        .value_kind:     by_value
      - .offset:         112
        .size:           12
        .value_kind:     by_value
      - .offset:         124
        .size:           12
        .value_kind:     by_value
      - .offset:         136
        .size:           4
        .value_kind:     by_value
      - .offset:         140
        .size:           4
        .value_kind:     by_value
      - .offset:         144
        .size:           4
        .value_kind:     by_value
      - .offset:         148
        .size:           4
        .value_kind:     by_value
      - .offset:         152
        .size:           4
        .value_kind:     by_value
      - .offset:         156
        .size:           4
        .value_kind:     by_value
      - .offset:         160
        .size:           4
        .value_kind:     by_value
      - .offset:         164
        .size:           4
        .value_kind:     by_value
      - .offset:         168
        .size:           4
        .value_kind:     by_value
      - .offset:         172
        .size:           4
        .value_kind:     by_value
      - .offset:         176
        .size:           4
        .value_kind:     by_value
      - .address_space:  global
        .offset:         184
        .size:           8
        .value_kind:     global_buffer
      - .address_space:  global
        .offset:         192
        .size:           8
        .value_kind:     global_buffer
      - .address_space:  global
        .offset:         200
        .size:           8
        .value_kind:     global_buffer
      - .address_space:  global
        .offset:         208
        .size:           8
        .value_kind:     global_buffer
      - .address_space:  global
        .offset:         216
        .size:           8
        .value_kind:     global_buffer
      - .address_space:  global
        .offset:         224
        .size:           8
        .value_kind:     global_buffer
      - .address_space:  global
        .offset:         232
        .size:           8
        .value_kind:     global_buffer
      - .offset:         240
        .size:           4
        .value_kind:     hidden_block_count_x
      - .offset:         244
        .size:           4
        .value_kind:     hidden_block_count_y
      - .offset:         248
        .size:           4
        .value_kind:     hidden_block_count_z
      - .offset:         252
        .size:           2
        .value_kind:     hidden_group_size_x
      - .offset:         254
        .size:           2
        .value_kind:     hidden_group_size_y
      - .offset:         256
        .size:           2
        .value_kind:     hidden_group_size_z
      - .offset:         258
        .size:           2
        .value_kind:     hidden_remainder_x
      - .offset:         260
        .size:           2
        .value_kind:     hidden_remainder_y
      - .offset:         262
        .size:           2
        .value_kind:     hidden_remainder_z
      - .offset:         280
        .size:           8
        .value_kind:     hidden_global_offset_x
      - .offset:         288
        .size:           8
        .value_kind:     hidden_global_offset_y
      - .offset:         296
        .size:           8
        .value_kind:     hidden_global_offset_z
      - .offset:         304
        .size:           2
        .value_kind:     hidden_grid_dims
    .group_segment_fixed_size: 0
    .kernarg_segment_align: 8
    .kernarg_segment_size: 496
    .language:       OpenCL C
    .language_version:
      - 2
      - 0
    .max_flat_workgroup_size: 1024
    .name:           _ZL19k_bin_bcast_unravelIXadL_ZL6op_addffEEfffJPKfS1_S1_S1_S1_S1_S1_EEvPKT0_PKT1_PT2_15HIP_vector_typeIjLj3EESB_SB_jSB_SB_SB_SB_SB_SB_iiiiiiiiiiiDpT3_
    .private_segment_fixed_size: 0
    .sgpr_count:     30
    .sgpr_spill_count: 0
    .symbol:         _ZL19k_bin_bcast_unravelIXadL_ZL6op_addffEEfffJPKfS1_S1_S1_S1_S1_S1_EEvPKT0_PKT1_PT2_15HIP_vector_typeIjLj3EESB_SB_jSB_SB_SB_SB_SB_SB_iiiiiiiiiiiDpT3_.kd
    .uniform_work_group_size: 1
    .uses_dynamic_stack: false
    .vgpr_count:     15
    .vgpr_spill_count: 0
    .wavefront_size: 32
    .workgroup_processor_mode: 1
  - .args:
      - .address_space:  global
        .offset:         0
        .size:           8
        .value_kind:     global_buffer
      - .address_space:  global
        .offset:         8
        .size:           8
        .value_kind:     global_buffer
      - .address_space:  global
        .offset:         16
        .size:           8
        .value_kind:     global_buffer
      - .offset:         24
        .size:           4
        .value_kind:     by_value
      - .offset:         28
        .size:           4
        .value_kind:     by_value
      - .offset:         32
        .size:           4
        .value_kind:     by_value
      - .offset:         36
        .size:           12
        .value_kind:     by_value
      - .offset:         48
        .size:           12
        .value_kind:     by_value
      - .offset:         60
        .size:           12
        .value_kind:     by_value
      - .offset:         72
        .size:           12
        .value_kind:     by_value
      - .offset:         84
        .size:           12
        .value_kind:     by_value
      - .offset:         96
        .size:           4
        .value_kind:     by_value
      - .offset:         100
        .size:           4
        .value_kind:     by_value
      - .offset:         104
        .size:           4
        .value_kind:     by_value
      - .offset:         108
        .size:           4
        .value_kind:     by_value
      - .offset:         112
        .size:           4
        .value_kind:     by_value
      - .offset:         116
        .size:           4
        .value_kind:     by_value
      - .offset:         120
        .size:           4
        .value_kind:     by_value
      - .offset:         124
        .size:           4
        .value_kind:     by_value
      - .offset:         128
        .size:           4
        .value_kind:     by_value
      - .offset:         132
        .size:           4
        .value_kind:     by_value
      - .offset:         136
        .size:           4
        .value_kind:     by_value
      - .address_space:  global
        .offset:         144
        .size:           8
        .value_kind:     global_buffer
      - .address_space:  global
        .offset:         152
        .size:           8
        .value_kind:     global_buffer
      - .address_space:  global
        .offset:         160
        .size:           8
        .value_kind:     global_buffer
      - .address_space:  global
        .offset:         168
        .size:           8
        .value_kind:     global_buffer
      - .address_space:  global
        .offset:         176
        .size:           8
        .value_kind:     global_buffer
      - .address_space:  global
        .offset:         184
        .size:           8
        .value_kind:     global_buffer
      - .address_space:  global
        .offset:         192
        .size:           8
        .value_kind:     global_buffer
      - .offset:         200
        .size:           4
        .value_kind:     hidden_block_count_x
      - .offset:         204
        .size:           4
        .value_kind:     hidden_block_count_y
      - .offset:         208
        .size:           4
        .value_kind:     hidden_block_count_z
      - .offset:         212
        .size:           2
        .value_kind:     hidden_group_size_x
      - .offset:         214
        .size:           2
        .value_kind:     hidden_group_size_y
      - .offset:         216
        .size:           2
        .value_kind:     hidden_group_size_z
      - .offset:         218
        .size:           2
        .value_kind:     hidden_remainder_x
      - .offset:         220
        .size:           2
        .value_kind:     hidden_remainder_y
      - .offset:         222
        .size:           2
        .value_kind:     hidden_remainder_z
      - .offset:         240
        .size:           8
        .value_kind:     hidden_global_offset_x
      - .offset:         248
        .size:           8
        .value_kind:     hidden_global_offset_y
      - .offset:         256
        .size:           8
        .value_kind:     hidden_global_offset_z
      - .offset:         264
        .size:           2
        .value_kind:     hidden_grid_dims
    .group_segment_fixed_size: 0
    .kernarg_segment_align: 8
    .kernarg_segment_size: 456
    .language:       OpenCL C
    .language_version:
      - 2
      - 0
    .max_flat_workgroup_size: 1024
    .name:           _ZL11k_bin_bcastIXadL_ZL6op_addffEEfffJPKfS1_S1_S1_S1_S1_S1_EEvPKT0_PKT1_PT2_iii15HIP_vector_typeIjLj3EESB_SB_SB_SB_iiiiiiiiiiiDpT3_
    .private_segment_fixed_size: 0
    .sgpr_count:     46
    .sgpr_spill_count: 0
    .symbol:         _ZL11k_bin_bcastIXadL_ZL6op_addffEEfffJPKfS1_S1_S1_S1_S1_S1_EEvPKT0_PKT1_PT2_iii15HIP_vector_typeIjLj3EESB_SB_SB_SB_iiiiiiiiiiiDpT3_.kd
    .uniform_work_group_size: 1
    .uses_dynamic_stack: false
    .vgpr_count:     18
    .vgpr_spill_count: 0
    .wavefront_size: 32
    .workgroup_processor_mode: 1
  - .args:
      - .address_space:  global
        .offset:         0
        .size:           8
        .value_kind:     global_buffer
      - .address_space:  global
        .offset:         8
        .size:           8
        .value_kind:     global_buffer
      - .address_space:  global
        .offset:         16
        .size:           8
        .value_kind:     global_buffer
      - .offset:         24
        .size:           12
        .value_kind:     by_value
      - .offset:         36
        .size:           12
        .value_kind:     by_value
      - .offset:         48
        .size:           12
        .value_kind:     by_value
      - .offset:         60
        .size:           4
        .value_kind:     by_value
      - .offset:         64
        .size:           12
        .value_kind:     by_value
      - .offset:         76
        .size:           12
        .value_kind:     by_value
      - .offset:         88
        .size:           12
        .value_kind:     by_value
      - .offset:         100
        .size:           12
        .value_kind:     by_value
      - .offset:         112
        .size:           12
        .value_kind:     by_value
      - .offset:         124
        .size:           12
        .value_kind:     by_value
      - .offset:         136
        .size:           4
        .value_kind:     by_value
      - .offset:         140
        .size:           4
        .value_kind:     by_value
      - .offset:         144
        .size:           4
        .value_kind:     by_value
      - .offset:         148
        .size:           4
        .value_kind:     by_value
      - .offset:         152
        .size:           4
        .value_kind:     by_value
      - .offset:         156
        .size:           4
        .value_kind:     by_value
      - .offset:         160
        .size:           4
        .value_kind:     by_value
      - .offset:         164
        .size:           4
        .value_kind:     by_value
      - .offset:         168
        .size:           4
        .value_kind:     by_value
      - .offset:         172
        .size:           4
        .value_kind:     by_value
      - .offset:         176
        .size:           4
        .value_kind:     by_value
      - .address_space:  global
        .offset:         184
        .size:           8
        .value_kind:     global_buffer
      - .address_space:  global
        .offset:         192
        .size:           8
        .value_kind:     global_buffer
      - .address_space:  global
        .offset:         200
        .size:           8
        .value_kind:     global_buffer
      - .address_space:  global
        .offset:         208
        .size:           8
        .value_kind:     global_buffer
      - .address_space:  global
        .offset:         216
        .size:           8
        .value_kind:     global_buffer
      - .address_space:  global
        .offset:         224
        .size:           8
        .value_kind:     global_buffer
      - .address_space:  global
        .offset:         232
        .size:           8
        .value_kind:     global_buffer
      - .offset:         240
        .size:           4
        .value_kind:     hidden_block_count_x
      - .offset:         244
        .size:           4
        .value_kind:     hidden_block_count_y
      - .offset:         248
        .size:           4
        .value_kind:     hidden_block_count_z
      - .offset:         252
        .size:           2
        .value_kind:     hidden_group_size_x
      - .offset:         254
        .size:           2
        .value_kind:     hidden_group_size_y
      - .offset:         256
        .size:           2
        .value_kind:     hidden_group_size_z
      - .offset:         258
        .size:           2
        .value_kind:     hidden_remainder_x
      - .offset:         260
        .size:           2
        .value_kind:     hidden_remainder_y
      - .offset:         262
        .size:           2
        .value_kind:     hidden_remainder_z
      - .offset:         280
        .size:           8
        .value_kind:     hidden_global_offset_x
      - .offset:         288
        .size:           8
        .value_kind:     hidden_global_offset_y
      - .offset:         296
        .size:           8
        .value_kind:     hidden_global_offset_z
      - .offset:         304
        .size:           2
        .value_kind:     hidden_grid_dims
    .group_segment_fixed_size: 0
    .kernarg_segment_align: 8
    .kernarg_segment_size: 496
    .language:       OpenCL C
    .language_version:
      - 2
      - 0
    .max_flat_workgroup_size: 1024
    .name:           _ZL19k_bin_bcast_unravelIXadL_ZL6op_addffEE6__halfS0_S0_JPKS0_S2_S2_S2_S2_S2_S2_EEvPKT0_PKT1_PT2_15HIP_vector_typeIjLj3EESC_SC_jSC_SC_SC_SC_SC_SC_iiiiiiiiiiiDpT3_
    .private_segment_fixed_size: 0
    .sgpr_count:     30
    .sgpr_spill_count: 0
    .symbol:         _ZL19k_bin_bcast_unravelIXadL_ZL6op_addffEE6__halfS0_S0_JPKS0_S2_S2_S2_S2_S2_S2_EEvPKT0_PKT1_PT2_15HIP_vector_typeIjLj3EESC_SC_jSC_SC_SC_SC_SC_SC_iiiiiiiiiiiDpT3_.kd
    .uniform_work_group_size: 1
    .uses_dynamic_stack: false
    .vgpr_count:     15
    .vgpr_spill_count: 0
    .wavefront_size: 32
    .workgroup_processor_mode: 1
  - .args:
      - .address_space:  global
        .offset:         0
        .size:           8
        .value_kind:     global_buffer
      - .address_space:  global
        .offset:         8
        .size:           8
        .value_kind:     global_buffer
      - .address_space:  global
        .offset:         16
        .size:           8
        .value_kind:     global_buffer
      - .offset:         24
        .size:           4
        .value_kind:     by_value
      - .offset:         28
        .size:           4
        .value_kind:     by_value
      - .offset:         32
        .size:           4
        .value_kind:     by_value
      - .offset:         36
        .size:           12
        .value_kind:     by_value
      - .offset:         48
        .size:           12
        .value_kind:     by_value
      - .offset:         60
        .size:           12
        .value_kind:     by_value
      - .offset:         72
        .size:           12
        .value_kind:     by_value
      - .offset:         84
        .size:           12
        .value_kind:     by_value
      - .offset:         96
        .size:           4
        .value_kind:     by_value
      - .offset:         100
        .size:           4
        .value_kind:     by_value
      - .offset:         104
        .size:           4
        .value_kind:     by_value
      - .offset:         108
        .size:           4
        .value_kind:     by_value
      - .offset:         112
        .size:           4
        .value_kind:     by_value
      - .offset:         116
        .size:           4
        .value_kind:     by_value
      - .offset:         120
        .size:           4
        .value_kind:     by_value
      - .offset:         124
        .size:           4
        .value_kind:     by_value
      - .offset:         128
        .size:           4
        .value_kind:     by_value
      - .offset:         132
        .size:           4
        .value_kind:     by_value
      - .offset:         136
        .size:           4
        .value_kind:     by_value
      - .address_space:  global
        .offset:         144
        .size:           8
        .value_kind:     global_buffer
      - .address_space:  global
        .offset:         152
        .size:           8
        .value_kind:     global_buffer
      - .address_space:  global
        .offset:         160
        .size:           8
        .value_kind:     global_buffer
      - .address_space:  global
        .offset:         168
        .size:           8
        .value_kind:     global_buffer
      - .address_space:  global
        .offset:         176
        .size:           8
        .value_kind:     global_buffer
      - .address_space:  global
        .offset:         184
        .size:           8
        .value_kind:     global_buffer
      - .address_space:  global
        .offset:         192
        .size:           8
        .value_kind:     global_buffer
      - .offset:         200
        .size:           4
        .value_kind:     hidden_block_count_x
      - .offset:         204
        .size:           4
        .value_kind:     hidden_block_count_y
      - .offset:         208
        .size:           4
        .value_kind:     hidden_block_count_z
      - .offset:         212
        .size:           2
        .value_kind:     hidden_group_size_x
      - .offset:         214
        .size:           2
        .value_kind:     hidden_group_size_y
      - .offset:         216
        .size:           2
        .value_kind:     hidden_group_size_z
      - .offset:         218
        .size:           2
        .value_kind:     hidden_remainder_x
      - .offset:         220
        .size:           2
        .value_kind:     hidden_remainder_y
      - .offset:         222
        .size:           2
        .value_kind:     hidden_remainder_z
      - .offset:         240
        .size:           8
        .value_kind:     hidden_global_offset_x
      - .offset:         248
        .size:           8
        .value_kind:     hidden_global_offset_y
      - .offset:         256
        .size:           8
        .value_kind:     hidden_global_offset_z
      - .offset:         264
        .size:           2
        .value_kind:     hidden_grid_dims
    .group_segment_fixed_size: 0
    .kernarg_segment_align: 8
    .kernarg_segment_size: 456
    .language:       OpenCL C
    .language_version:
      - 2
      - 0
    .max_flat_workgroup_size: 1024
    .name:           _ZL11k_bin_bcastIXadL_ZL6op_addffEE6__halfS0_S0_JPKS0_S2_S2_S2_S2_S2_S2_EEvPKT0_PKT1_PT2_iii15HIP_vector_typeIjLj3EESC_SC_SC_SC_iiiiiiiiiiiDpT3_
    .private_segment_fixed_size: 0
    .sgpr_count:     46
    .sgpr_spill_count: 0
    .symbol:         _ZL11k_bin_bcastIXadL_ZL6op_addffEE6__halfS0_S0_JPKS0_S2_S2_S2_S2_S2_S2_EEvPKT0_PKT1_PT2_iii15HIP_vector_typeIjLj3EESC_SC_SC_SC_iiiiiiiiiiiDpT3_.kd
    .uniform_work_group_size: 1
    .uses_dynamic_stack: false
    .vgpr_count:     18
    .vgpr_spill_count: 0
    .wavefront_size: 32
    .workgroup_processor_mode: 1
  - .args:
      - .address_space:  global
        .offset:         0
        .size:           8
        .value_kind:     global_buffer
      - .address_space:  global
        .offset:         8
        .size:           8
        .value_kind:     global_buffer
      - .address_space:  global
        .offset:         16
        .size:           8
        .value_kind:     global_buffer
      - .offset:         24
        .size:           12
        .value_kind:     by_value
      - .offset:         36
        .size:           12
        .value_kind:     by_value
      - .offset:         48
        .size:           12
        .value_kind:     by_value
      - .offset:         60
        .size:           4
        .value_kind:     by_value
      - .offset:         64
        .size:           12
        .value_kind:     by_value
      - .offset:         76
        .size:           12
        .value_kind:     by_value
      - .offset:         88
        .size:           12
        .value_kind:     by_value
      - .offset:         100
        .size:           12
        .value_kind:     by_value
      - .offset:         112
        .size:           12
        .value_kind:     by_value
      - .offset:         124
        .size:           12
        .value_kind:     by_value
      - .offset:         136
        .size:           4
        .value_kind:     by_value
      - .offset:         140
        .size:           4
        .value_kind:     by_value
      - .offset:         144
        .size:           4
        .value_kind:     by_value
      - .offset:         148
        .size:           4
        .value_kind:     by_value
      - .offset:         152
        .size:           4
        .value_kind:     by_value
      - .offset:         156
        .size:           4
        .value_kind:     by_value
      - .offset:         160
        .size:           4
        .value_kind:     by_value
      - .offset:         164
        .size:           4
        .value_kind:     by_value
      - .offset:         168
        .size:           4
        .value_kind:     by_value
      - .offset:         172
        .size:           4
        .value_kind:     by_value
      - .offset:         176
        .size:           4
        .value_kind:     by_value
      - .address_space:  global
        .offset:         184
        .size:           8
        .value_kind:     global_buffer
      - .address_space:  global
        .offset:         192
        .size:           8
        .value_kind:     global_buffer
      - .address_space:  global
        .offset:         200
        .size:           8
        .value_kind:     global_buffer
      - .address_space:  global
        .offset:         208
        .size:           8
        .value_kind:     global_buffer
      - .address_space:  global
        .offset:         216
        .size:           8
        .value_kind:     global_buffer
      - .address_space:  global
        .offset:         224
        .size:           8
        .value_kind:     global_buffer
      - .address_space:  global
        .offset:         232
        .size:           8
        .value_kind:     global_buffer
      - .offset:         240
        .size:           4
        .value_kind:     hidden_block_count_x
      - .offset:         244
        .size:           4
        .value_kind:     hidden_block_count_y
      - .offset:         248
        .size:           4
        .value_kind:     hidden_block_count_z
      - .offset:         252
        .size:           2
        .value_kind:     hidden_group_size_x
      - .offset:         254
        .size:           2
        .value_kind:     hidden_group_size_y
      - .offset:         256
        .size:           2
        .value_kind:     hidden_group_size_z
      - .offset:         258
        .size:           2
        .value_kind:     hidden_remainder_x
      - .offset:         260
        .size:           2
        .value_kind:     hidden_remainder_y
      - .offset:         262
        .size:           2
        .value_kind:     hidden_remainder_z
      - .offset:         280
        .size:           8
        .value_kind:     hidden_global_offset_x
      - .offset:         288
        .size:           8
        .value_kind:     hidden_global_offset_y
      - .offset:         296
        .size:           8
        .value_kind:     hidden_global_offset_z
      - .offset:         304
        .size:           2
        .value_kind:     hidden_grid_dims
    .group_segment_fixed_size: 0
    .kernarg_segment_align: 8
    .kernarg_segment_size: 496
    .language:       OpenCL C
    .language_version:
      - 2
      - 0
    .max_flat_workgroup_size: 1024
    .name:           _ZL19k_bin_bcast_unravelIXadL_ZL6op_addffEE6__halffS0_JPKfS2_S2_S2_S2_S2_S2_EEvPKT0_PKT1_PT2_15HIP_vector_typeIjLj3EESC_SC_jSC_SC_SC_SC_SC_SC_iiiiiiiiiiiDpT3_
    .private_segment_fixed_size: 0
    .sgpr_count:     30
    .sgpr_spill_count: 0
    .symbol:         _ZL19k_bin_bcast_unravelIXadL_ZL6op_addffEE6__halffS0_JPKfS2_S2_S2_S2_S2_S2_EEvPKT0_PKT1_PT2_15HIP_vector_typeIjLj3EESC_SC_jSC_SC_SC_SC_SC_SC_iiiiiiiiiiiDpT3_.kd
    .uniform_work_group_size: 1
    .uses_dynamic_stack: false
    .vgpr_count:     15
    .vgpr_spill_count: 0
    .wavefront_size: 32
    .workgroup_processor_mode: 1
  - .args:
      - .address_space:  global
        .offset:         0
        .size:           8
        .value_kind:     global_buffer
      - .address_space:  global
        .offset:         8
        .size:           8
        .value_kind:     global_buffer
      - .address_space:  global
        .offset:         16
        .size:           8
        .value_kind:     global_buffer
      - .offset:         24
        .size:           4
        .value_kind:     by_value
      - .offset:         28
        .size:           4
        .value_kind:     by_value
      - .offset:         32
        .size:           4
        .value_kind:     by_value
      - .offset:         36
        .size:           12
        .value_kind:     by_value
      - .offset:         48
        .size:           12
        .value_kind:     by_value
      - .offset:         60
        .size:           12
        .value_kind:     by_value
      - .offset:         72
        .size:           12
        .value_kind:     by_value
      - .offset:         84
        .size:           12
        .value_kind:     by_value
      - .offset:         96
        .size:           4
        .value_kind:     by_value
      - .offset:         100
        .size:           4
        .value_kind:     by_value
      - .offset:         104
        .size:           4
        .value_kind:     by_value
      - .offset:         108
        .size:           4
        .value_kind:     by_value
      - .offset:         112
        .size:           4
        .value_kind:     by_value
      - .offset:         116
        .size:           4
        .value_kind:     by_value
      - .offset:         120
        .size:           4
        .value_kind:     by_value
      - .offset:         124
        .size:           4
        .value_kind:     by_value
      - .offset:         128
        .size:           4
        .value_kind:     by_value
      - .offset:         132
        .size:           4
        .value_kind:     by_value
      - .offset:         136
        .size:           4
        .value_kind:     by_value
      - .address_space:  global
        .offset:         144
        .size:           8
        .value_kind:     global_buffer
      - .address_space:  global
        .offset:         152
        .size:           8
        .value_kind:     global_buffer
      - .address_space:  global
        .offset:         160
        .size:           8
        .value_kind:     global_buffer
      - .address_space:  global
        .offset:         168
        .size:           8
        .value_kind:     global_buffer
      - .address_space:  global
        .offset:         176
        .size:           8
        .value_kind:     global_buffer
      - .address_space:  global
        .offset:         184
        .size:           8
        .value_kind:     global_buffer
      - .address_space:  global
        .offset:         192
        .size:           8
        .value_kind:     global_buffer
      - .offset:         200
        .size:           4
        .value_kind:     hidden_block_count_x
      - .offset:         204
        .size:           4
        .value_kind:     hidden_block_count_y
      - .offset:         208
        .size:           4
        .value_kind:     hidden_block_count_z
      - .offset:         212
        .size:           2
        .value_kind:     hidden_group_size_x
      - .offset:         214
        .size:           2
        .value_kind:     hidden_group_size_y
      - .offset:         216
        .size:           2
        .value_kind:     hidden_group_size_z
      - .offset:         218
        .size:           2
        .value_kind:     hidden_remainder_x
      - .offset:         220
        .size:           2
        .value_kind:     hidden_remainder_y
      - .offset:         222
        .size:           2
        .value_kind:     hidden_remainder_z
      - .offset:         240
        .size:           8
        .value_kind:     hidden_global_offset_x
      - .offset:         248
        .size:           8
        .value_kind:     hidden_global_offset_y
      - .offset:         256
        .size:           8
        .value_kind:     hidden_global_offset_z
      - .offset:         264
        .size:           2
        .value_kind:     hidden_grid_dims
    .group_segment_fixed_size: 0
    .kernarg_segment_align: 8
    .kernarg_segment_size: 456
    .language:       OpenCL C
    .language_version:
      - 2
      - 0
    .max_flat_workgroup_size: 1024
    .name:           _ZL11k_bin_bcastIXadL_ZL6op_addffEE6__halffS0_JPKfS2_S2_S2_S2_S2_S2_EEvPKT0_PKT1_PT2_iii15HIP_vector_typeIjLj3EESC_SC_SC_SC_iiiiiiiiiiiDpT3_
    .private_segment_fixed_size: 0
    .sgpr_count:     46
    .sgpr_spill_count: 0
    .symbol:         _ZL11k_bin_bcastIXadL_ZL6op_addffEE6__halffS0_JPKfS2_S2_S2_S2_S2_S2_EEvPKT0_PKT1_PT2_iii15HIP_vector_typeIjLj3EESC_SC_SC_SC_iiiiiiiiiiiDpT3_.kd
    .uniform_work_group_size: 1
    .uses_dynamic_stack: false
    .vgpr_count:     18
    .vgpr_spill_count: 0
    .wavefront_size: 32
    .workgroup_processor_mode: 1
  - .args:
      - .address_space:  global
        .offset:         0
        .size:           8
        .value_kind:     global_buffer
      - .address_space:  global
        .offset:         8
        .size:           8
        .value_kind:     global_buffer
      - .address_space:  global
        .offset:         16
        .size:           8
        .value_kind:     global_buffer
      - .offset:         24
        .size:           12
        .value_kind:     by_value
      - .offset:         36
        .size:           12
        .value_kind:     by_value
      - .offset:         48
        .size:           12
        .value_kind:     by_value
      - .offset:         60
        .size:           4
        .value_kind:     by_value
      - .offset:         64
        .size:           12
        .value_kind:     by_value
      - .offset:         76
        .size:           12
        .value_kind:     by_value
      - .offset:         88
        .size:           12
        .value_kind:     by_value
      - .offset:         100
        .size:           12
        .value_kind:     by_value
      - .offset:         112
        .size:           12
        .value_kind:     by_value
      - .offset:         124
        .size:           12
        .value_kind:     by_value
      - .offset:         136
        .size:           4
        .value_kind:     by_value
      - .offset:         140
        .size:           4
        .value_kind:     by_value
      - .offset:         144
        .size:           4
        .value_kind:     by_value
      - .offset:         148
        .size:           4
        .value_kind:     by_value
      - .offset:         152
        .size:           4
        .value_kind:     by_value
      - .offset:         156
        .size:           4
        .value_kind:     by_value
      - .offset:         160
        .size:           4
        .value_kind:     by_value
      - .offset:         164
        .size:           4
        .value_kind:     by_value
      - .offset:         168
        .size:           4
        .value_kind:     by_value
      - .offset:         172
        .size:           4
        .value_kind:     by_value
      - .offset:         176
        .size:           4
        .value_kind:     by_value
      - .address_space:  global
        .offset:         184
        .size:           8
        .value_kind:     global_buffer
      - .address_space:  global
        .offset:         192
        .size:           8
        .value_kind:     global_buffer
      - .address_space:  global
        .offset:         200
        .size:           8
        .value_kind:     global_buffer
      - .address_space:  global
        .offset:         208
        .size:           8
        .value_kind:     global_buffer
      - .address_space:  global
        .offset:         216
        .size:           8
        .value_kind:     global_buffer
      - .address_space:  global
        .offset:         224
        .size:           8
        .value_kind:     global_buffer
      - .address_space:  global
        .offset:         232
        .size:           8
        .value_kind:     global_buffer
      - .offset:         240
        .size:           4
        .value_kind:     hidden_block_count_x
      - .offset:         244
        .size:           4
        .value_kind:     hidden_block_count_y
      - .offset:         248
        .size:           4
        .value_kind:     hidden_block_count_z
      - .offset:         252
        .size:           2
        .value_kind:     hidden_group_size_x
      - .offset:         254
        .size:           2
        .value_kind:     hidden_group_size_y
      - .offset:         256
        .size:           2
        .value_kind:     hidden_group_size_z
      - .offset:         258
        .size:           2
        .value_kind:     hidden_remainder_x
      - .offset:         260
        .size:           2
        .value_kind:     hidden_remainder_y
      - .offset:         262
        .size:           2
        .value_kind:     hidden_remainder_z
      - .offset:         280
        .size:           8
        .value_kind:     hidden_global_offset_x
      - .offset:         288
        .size:           8
        .value_kind:     hidden_global_offset_y
      - .offset:         296
        .size:           8
        .value_kind:     hidden_global_offset_z
      - .offset:         304
        .size:           2
        .value_kind:     hidden_grid_dims
    .group_segment_fixed_size: 0
    .kernarg_segment_align: 8
    .kernarg_segment_size: 496
    .language:       OpenCL C
    .language_version:
      - 2
      - 0
    .max_flat_workgroup_size: 1024
    .name:           _ZL19k_bin_bcast_unravelIXadL_ZL6op_addffEE6__halfffJPKfS2_S2_S2_S2_S2_S2_EEvPKT0_PKT1_PT2_15HIP_vector_typeIjLj3EESC_SC_jSC_SC_SC_SC_SC_SC_iiiiiiiiiiiDpT3_
    .private_segment_fixed_size: 0
    .sgpr_count:     30
    .sgpr_spill_count: 0
    .symbol:         _ZL19k_bin_bcast_unravelIXadL_ZL6op_addffEE6__halfffJPKfS2_S2_S2_S2_S2_S2_EEvPKT0_PKT1_PT2_15HIP_vector_typeIjLj3EESC_SC_jSC_SC_SC_SC_SC_SC_iiiiiiiiiiiDpT3_.kd
    .uniform_work_group_size: 1
    .uses_dynamic_stack: false
    .vgpr_count:     15
    .vgpr_spill_count: 0
    .wavefront_size: 32
    .workgroup_processor_mode: 1
  - .args:
      - .address_space:  global
        .offset:         0
        .size:           8
        .value_kind:     global_buffer
      - .address_space:  global
        .offset:         8
        .size:           8
        .value_kind:     global_buffer
      - .address_space:  global
        .offset:         16
        .size:           8
        .value_kind:     global_buffer
      - .offset:         24
        .size:           4
        .value_kind:     by_value
      - .offset:         28
        .size:           4
        .value_kind:     by_value
      - .offset:         32
        .size:           4
        .value_kind:     by_value
      - .offset:         36
        .size:           12
        .value_kind:     by_value
      - .offset:         48
        .size:           12
        .value_kind:     by_value
      - .offset:         60
        .size:           12
        .value_kind:     by_value
      - .offset:         72
        .size:           12
        .value_kind:     by_value
      - .offset:         84
        .size:           12
        .value_kind:     by_value
      - .offset:         96
        .size:           4
        .value_kind:     by_value
      - .offset:         100
        .size:           4
        .value_kind:     by_value
      - .offset:         104
        .size:           4
        .value_kind:     by_value
      - .offset:         108
        .size:           4
        .value_kind:     by_value
      - .offset:         112
        .size:           4
        .value_kind:     by_value
      - .offset:         116
        .size:           4
        .value_kind:     by_value
      - .offset:         120
        .size:           4
        .value_kind:     by_value
      - .offset:         124
        .size:           4
        .value_kind:     by_value
      - .offset:         128
        .size:           4
        .value_kind:     by_value
      - .offset:         132
        .size:           4
        .value_kind:     by_value
      - .offset:         136
        .size:           4
        .value_kind:     by_value
      - .address_space:  global
        .offset:         144
        .size:           8
        .value_kind:     global_buffer
      - .address_space:  global
        .offset:         152
        .size:           8
        .value_kind:     global_buffer
      - .address_space:  global
        .offset:         160
        .size:           8
        .value_kind:     global_buffer
      - .address_space:  global
        .offset:         168
        .size:           8
        .value_kind:     global_buffer
      - .address_space:  global
        .offset:         176
        .size:           8
        .value_kind:     global_buffer
      - .address_space:  global
        .offset:         184
        .size:           8
        .value_kind:     global_buffer
      - .address_space:  global
        .offset:         192
        .size:           8
        .value_kind:     global_buffer
      - .offset:         200
        .size:           4
        .value_kind:     hidden_block_count_x
      - .offset:         204
        .size:           4
        .value_kind:     hidden_block_count_y
      - .offset:         208
        .size:           4
        .value_kind:     hidden_block_count_z
      - .offset:         212
        .size:           2
        .value_kind:     hidden_group_size_x
      - .offset:         214
        .size:           2
        .value_kind:     hidden_group_size_y
      - .offset:         216
        .size:           2
        .value_kind:     hidden_group_size_z
      - .offset:         218
        .size:           2
        .value_kind:     hidden_remainder_x
      - .offset:         220
        .size:           2
        .value_kind:     hidden_remainder_y
      - .offset:         222
        .size:           2
        .value_kind:     hidden_remainder_z
      - .offset:         240
        .size:           8
        .value_kind:     hidden_global_offset_x
      - .offset:         248
        .size:           8
        .value_kind:     hidden_global_offset_y
      - .offset:         256
        .size:           8
        .value_kind:     hidden_global_offset_z
      - .offset:         264
        .size:           2
        .value_kind:     hidden_grid_dims
    .group_segment_fixed_size: 0
    .kernarg_segment_align: 8
    .kernarg_segment_size: 456
    .language:       OpenCL C
    .language_version:
      - 2
      - 0
    .max_flat_workgroup_size: 1024
    .name:           _ZL11k_bin_bcastIXadL_ZL6op_addffEE6__halfffJPKfS2_S2_S2_S2_S2_S2_EEvPKT0_PKT1_PT2_iii15HIP_vector_typeIjLj3EESC_SC_SC_SC_iiiiiiiiiiiDpT3_
    .private_segment_fixed_size: 0
    .sgpr_count:     46
    .sgpr_spill_count: 0
    .symbol:         _ZL11k_bin_bcastIXadL_ZL6op_addffEE6__halfffJPKfS2_S2_S2_S2_S2_S2_EEvPKT0_PKT1_PT2_iii15HIP_vector_typeIjLj3EESC_SC_SC_SC_iiiiiiiiiiiDpT3_.kd
    .uniform_work_group_size: 1
    .uses_dynamic_stack: false
    .vgpr_count:     18
    .vgpr_spill_count: 0
    .wavefront_size: 32
    .workgroup_processor_mode: 1
  - .args:
      - .address_space:  global
        .offset:         0
        .size:           8
        .value_kind:     global_buffer
      - .address_space:  global
        .offset:         8
        .size:           8
        .value_kind:     global_buffer
      - .address_space:  global
        .offset:         16
        .size:           8
        .value_kind:     global_buffer
      - .offset:         24
        .size:           12
        .value_kind:     by_value
      - .offset:         36
        .size:           12
        .value_kind:     by_value
      - .offset:         48
        .size:           12
        .value_kind:     by_value
      - .offset:         60
        .size:           4
        .value_kind:     by_value
      - .offset:         64
        .size:           12
        .value_kind:     by_value
      - .offset:         76
        .size:           12
        .value_kind:     by_value
      - .offset:         88
        .size:           12
        .value_kind:     by_value
      - .offset:         100
        .size:           12
        .value_kind:     by_value
      - .offset:         112
        .size:           12
        .value_kind:     by_value
      - .offset:         124
        .size:           12
        .value_kind:     by_value
      - .offset:         136
        .size:           4
        .value_kind:     by_value
      - .offset:         140
        .size:           4
        .value_kind:     by_value
      - .offset:         144
        .size:           4
        .value_kind:     by_value
      - .offset:         148
        .size:           4
        .value_kind:     by_value
      - .offset:         152
        .size:           4
        .value_kind:     by_value
      - .offset:         156
        .size:           4
        .value_kind:     by_value
      - .offset:         160
        .size:           4
        .value_kind:     by_value
      - .offset:         164
        .size:           4
        .value_kind:     by_value
      - .offset:         168
        .size:           4
        .value_kind:     by_value
      - .offset:         172
        .size:           4
        .value_kind:     by_value
      - .offset:         176
        .size:           4
        .value_kind:     by_value
      - .address_space:  global
        .offset:         184
        .size:           8
        .value_kind:     global_buffer
      - .address_space:  global
        .offset:         192
        .size:           8
        .value_kind:     global_buffer
      - .address_space:  global
        .offset:         200
        .size:           8
        .value_kind:     global_buffer
      - .address_space:  global
        .offset:         208
        .size:           8
        .value_kind:     global_buffer
      - .address_space:  global
        .offset:         216
        .size:           8
        .value_kind:     global_buffer
      - .address_space:  global
        .offset:         224
        .size:           8
        .value_kind:     global_buffer
      - .address_space:  global
        .offset:         232
        .size:           8
        .value_kind:     global_buffer
      - .address_space:  global
        .offset:         240
        .size:           8
        .value_kind:     global_buffer
      - .offset:         248
        .size:           4
        .value_kind:     hidden_block_count_x
      - .offset:         252
        .size:           4
        .value_kind:     hidden_block_count_y
      - .offset:         256
        .size:           4
        .value_kind:     hidden_block_count_z
      - .offset:         260
        .size:           2
        .value_kind:     hidden_group_size_x
      - .offset:         262
        .size:           2
        .value_kind:     hidden_group_size_y
      - .offset:         264
        .size:           2
        .value_kind:     hidden_group_size_z
      - .offset:         266
        .size:           2
        .value_kind:     hidden_remainder_x
      - .offset:         268
        .size:           2
        .value_kind:     hidden_remainder_y
      - .offset:         270
        .size:           2
        .value_kind:     hidden_remainder_z
      - .offset:         288
        .size:           8
        .value_kind:     hidden_global_offset_x
      - .offset:         296
        .size:           8
        .value_kind:     hidden_global_offset_y
      - .offset:         304
        .size:           8
        .value_kind:     hidden_global_offset_z
      - .offset:         312
        .size:           2
        .value_kind:     hidden_grid_dims
    .group_segment_fixed_size: 0
    .kernarg_segment_align: 8
    .kernarg_segment_size: 504
    .language:       OpenCL C
    .language_version:
      - 2
      - 0
    .max_flat_workgroup_size: 1024
    .name:           _ZL19k_bin_bcast_unravelIXadL_ZL6op_addffEEfffJPKfS1_S1_S1_S1_S1_S1_S1_EEvPKT0_PKT1_PT2_15HIP_vector_typeIjLj3EESB_SB_jSB_SB_SB_SB_SB_SB_iiiiiiiiiiiDpT3_
    .private_segment_fixed_size: 0
    .sgpr_count:     30
    .sgpr_spill_count: 0
    .symbol:         _ZL19k_bin_bcast_unravelIXadL_ZL6op_addffEEfffJPKfS1_S1_S1_S1_S1_S1_S1_EEvPKT0_PKT1_PT2_15HIP_vector_typeIjLj3EESB_SB_jSB_SB_SB_SB_SB_SB_iiiiiiiiiiiDpT3_.kd
    .uniform_work_group_size: 1
    .uses_dynamic_stack: false
    .vgpr_count:     16
    .vgpr_spill_count: 0
    .wavefront_size: 32
    .workgroup_processor_mode: 1
  - .args:
      - .address_space:  global
        .offset:         0
        .size:           8
        .value_kind:     global_buffer
      - .address_space:  global
        .offset:         8
        .size:           8
        .value_kind:     global_buffer
      - .address_space:  global
        .offset:         16
        .size:           8
        .value_kind:     global_buffer
      - .offset:         24
        .size:           4
        .value_kind:     by_value
      - .offset:         28
        .size:           4
        .value_kind:     by_value
      - .offset:         32
        .size:           4
        .value_kind:     by_value
      - .offset:         36
        .size:           12
        .value_kind:     by_value
      - .offset:         48
        .size:           12
        .value_kind:     by_value
      - .offset:         60
        .size:           12
        .value_kind:     by_value
      - .offset:         72
        .size:           12
        .value_kind:     by_value
      - .offset:         84
        .size:           12
        .value_kind:     by_value
      - .offset:         96
        .size:           4
        .value_kind:     by_value
      - .offset:         100
        .size:           4
        .value_kind:     by_value
      - .offset:         104
        .size:           4
        .value_kind:     by_value
      - .offset:         108
        .size:           4
        .value_kind:     by_value
      - .offset:         112
        .size:           4
        .value_kind:     by_value
      - .offset:         116
        .size:           4
        .value_kind:     by_value
      - .offset:         120
        .size:           4
        .value_kind:     by_value
      - .offset:         124
        .size:           4
        .value_kind:     by_value
      - .offset:         128
        .size:           4
        .value_kind:     by_value
      - .offset:         132
        .size:           4
        .value_kind:     by_value
      - .offset:         136
        .size:           4
        .value_kind:     by_value
      - .address_space:  global
        .offset:         144
        .size:           8
        .value_kind:     global_buffer
      - .address_space:  global
        .offset:         152
        .size:           8
        .value_kind:     global_buffer
      - .address_space:  global
        .offset:         160
        .size:           8
        .value_kind:     global_buffer
      - .address_space:  global
        .offset:         168
        .size:           8
        .value_kind:     global_buffer
      - .address_space:  global
        .offset:         176
        .size:           8
        .value_kind:     global_buffer
      - .address_space:  global
        .offset:         184
        .size:           8
        .value_kind:     global_buffer
      - .address_space:  global
        .offset:         192
        .size:           8
        .value_kind:     global_buffer
      - .address_space:  global
        .offset:         200
        .size:           8
        .value_kind:     global_buffer
      - .offset:         208
        .size:           4
        .value_kind:     hidden_block_count_x
      - .offset:         212
        .size:           4
        .value_kind:     hidden_block_count_y
      - .offset:         216
        .size:           4
        .value_kind:     hidden_block_count_z
      - .offset:         220
        .size:           2
        .value_kind:     hidden_group_size_x
      - .offset:         222
        .size:           2
        .value_kind:     hidden_group_size_y
      - .offset:         224
        .size:           2
        .value_kind:     hidden_group_size_z
      - .offset:         226
        .size:           2
        .value_kind:     hidden_remainder_x
      - .offset:         228
        .size:           2
        .value_kind:     hidden_remainder_y
      - .offset:         230
        .size:           2
        .value_kind:     hidden_remainder_z
      - .offset:         248
        .size:           8
        .value_kind:     hidden_global_offset_x
      - .offset:         256
        .size:           8
        .value_kind:     hidden_global_offset_y
      - .offset:         264
        .size:           8
        .value_kind:     hidden_global_offset_z
      - .offset:         272
        .size:           2
        .value_kind:     hidden_grid_dims
    .group_segment_fixed_size: 0
    .kernarg_segment_align: 8
    .kernarg_segment_size: 464
    .language:       OpenCL C
    .language_version:
      - 2
      - 0
    .max_flat_workgroup_size: 1024
    .name:           _ZL11k_bin_bcastIXadL_ZL6op_addffEEfffJPKfS1_S1_S1_S1_S1_S1_S1_EEvPKT0_PKT1_PT2_iii15HIP_vector_typeIjLj3EESB_SB_SB_SB_iiiiiiiiiiiDpT3_
    .private_segment_fixed_size: 0
    .sgpr_count:     46
    .sgpr_spill_count: 0
    .symbol:         _ZL11k_bin_bcastIXadL_ZL6op_addffEEfffJPKfS1_S1_S1_S1_S1_S1_S1_EEvPKT0_PKT1_PT2_iii15HIP_vector_typeIjLj3EESB_SB_SB_SB_iiiiiiiiiiiDpT3_.kd
    .uniform_work_group_size: 1
    .uses_dynamic_stack: false
    .vgpr_count:     19
    .vgpr_spill_count: 0
    .wavefront_size: 32
    .workgroup_processor_mode: 1
  - .args:
      - .address_space:  global
        .offset:         0
        .size:           8
        .value_kind:     global_buffer
      - .address_space:  global
        .offset:         8
        .size:           8
        .value_kind:     global_buffer
      - .address_space:  global
        .offset:         16
        .size:           8
        .value_kind:     global_buffer
      - .offset:         24
        .size:           12
        .value_kind:     by_value
      - .offset:         36
        .size:           12
        .value_kind:     by_value
      - .offset:         48
        .size:           12
        .value_kind:     by_value
      - .offset:         60
        .size:           4
        .value_kind:     by_value
      - .offset:         64
        .size:           12
        .value_kind:     by_value
      - .offset:         76
        .size:           12
        .value_kind:     by_value
      - .offset:         88
        .size:           12
        .value_kind:     by_value
      - .offset:         100
        .size:           12
        .value_kind:     by_value
      - .offset:         112
        .size:           12
        .value_kind:     by_value
      - .offset:         124
        .size:           12
        .value_kind:     by_value
      - .offset:         136
        .size:           4
        .value_kind:     by_value
      - .offset:         140
        .size:           4
        .value_kind:     by_value
      - .offset:         144
        .size:           4
        .value_kind:     by_value
      - .offset:         148
        .size:           4
        .value_kind:     by_value
      - .offset:         152
        .size:           4
        .value_kind:     by_value
      - .offset:         156
        .size:           4
        .value_kind:     by_value
      - .offset:         160
        .size:           4
        .value_kind:     by_value
      - .offset:         164
        .size:           4
        .value_kind:     by_value
      - .offset:         168
        .size:           4
        .value_kind:     by_value
      - .offset:         172
        .size:           4
        .value_kind:     by_value
      - .offset:         176
        .size:           4
        .value_kind:     by_value
      - .address_space:  global
        .offset:         184
        .size:           8
        .value_kind:     global_buffer
      - .address_space:  global
        .offset:         192
        .size:           8
        .value_kind:     global_buffer
      - .address_space:  global
        .offset:         200
        .size:           8
        .value_kind:     global_buffer
      - .address_space:  global
        .offset:         208
        .size:           8
        .value_kind:     global_buffer
      - .address_space:  global
        .offset:         216
        .size:           8
        .value_kind:     global_buffer
      - .address_space:  global
        .offset:         224
        .size:           8
        .value_kind:     global_buffer
      - .address_space:  global
        .offset:         232
        .size:           8
        .value_kind:     global_buffer
      - .address_space:  global
        .offset:         240
        .size:           8
        .value_kind:     global_buffer
      - .offset:         248
        .size:           4
        .value_kind:     hidden_block_count_x
      - .offset:         252
        .size:           4
        .value_kind:     hidden_block_count_y
      - .offset:         256
        .size:           4
        .value_kind:     hidden_block_count_z
      - .offset:         260
        .size:           2
        .value_kind:     hidden_group_size_x
      - .offset:         262
        .size:           2
        .value_kind:     hidden_group_size_y
      - .offset:         264
        .size:           2
        .value_kind:     hidden_group_size_z
      - .offset:         266
        .size:           2
        .value_kind:     hidden_remainder_x
      - .offset:         268
        .size:           2
        .value_kind:     hidden_remainder_y
      - .offset:         270
        .size:           2
        .value_kind:     hidden_remainder_z
      - .offset:         288
        .size:           8
        .value_kind:     hidden_global_offset_x
      - .offset:         296
        .size:           8
        .value_kind:     hidden_global_offset_y
      - .offset:         304
        .size:           8
        .value_kind:     hidden_global_offset_z
      - .offset:         312
        .size:           2
        .value_kind:     hidden_grid_dims
    .group_segment_fixed_size: 0
    .kernarg_segment_align: 8
    .kernarg_segment_size: 504
    .language:       OpenCL C
    .language_version:
      - 2
      - 0
    .max_flat_workgroup_size: 1024
    .name:           _ZL19k_bin_bcast_unravelIXadL_ZL6op_addffEE6__halfS0_S0_JPKS0_S2_S2_S2_S2_S2_S2_S2_EEvPKT0_PKT1_PT2_15HIP_vector_typeIjLj3EESC_SC_jSC_SC_SC_SC_SC_SC_iiiiiiiiiiiDpT3_
    .private_segment_fixed_size: 0
    .sgpr_count:     30
    .sgpr_spill_count: 0
    .symbol:         _ZL19k_bin_bcast_unravelIXadL_ZL6op_addffEE6__halfS0_S0_JPKS0_S2_S2_S2_S2_S2_S2_S2_EEvPKT0_PKT1_PT2_15HIP_vector_typeIjLj3EESC_SC_jSC_SC_SC_SC_SC_SC_iiiiiiiiiiiDpT3_.kd
    .uniform_work_group_size: 1
    .uses_dynamic_stack: false
    .vgpr_count:     16
    .vgpr_spill_count: 0
    .wavefront_size: 32
    .workgroup_processor_mode: 1
  - .args:
      - .address_space:  global
        .offset:         0
        .size:           8
        .value_kind:     global_buffer
      - .address_space:  global
        .offset:         8
        .size:           8
        .value_kind:     global_buffer
      - .address_space:  global
        .offset:         16
        .size:           8
        .value_kind:     global_buffer
      - .offset:         24
        .size:           4
        .value_kind:     by_value
      - .offset:         28
        .size:           4
        .value_kind:     by_value
      - .offset:         32
        .size:           4
        .value_kind:     by_value
      - .offset:         36
        .size:           12
        .value_kind:     by_value
      - .offset:         48
        .size:           12
        .value_kind:     by_value
      - .offset:         60
        .size:           12
        .value_kind:     by_value
      - .offset:         72
        .size:           12
        .value_kind:     by_value
      - .offset:         84
        .size:           12
        .value_kind:     by_value
      - .offset:         96
        .size:           4
        .value_kind:     by_value
      - .offset:         100
        .size:           4
        .value_kind:     by_value
      - .offset:         104
        .size:           4
        .value_kind:     by_value
      - .offset:         108
        .size:           4
        .value_kind:     by_value
      - .offset:         112
        .size:           4
        .value_kind:     by_value
      - .offset:         116
        .size:           4
        .value_kind:     by_value
      - .offset:         120
        .size:           4
        .value_kind:     by_value
      - .offset:         124
        .size:           4
        .value_kind:     by_value
      - .offset:         128
        .size:           4
        .value_kind:     by_value
      - .offset:         132
        .size:           4
        .value_kind:     by_value
      - .offset:         136
        .size:           4
        .value_kind:     by_value
      - .address_space:  global
        .offset:         144
        .size:           8
        .value_kind:     global_buffer
      - .address_space:  global
        .offset:         152
        .size:           8
        .value_kind:     global_buffer
      - .address_space:  global
        .offset:         160
        .size:           8
        .value_kind:     global_buffer
      - .address_space:  global
        .offset:         168
        .size:           8
        .value_kind:     global_buffer
      - .address_space:  global
        .offset:         176
        .size:           8
        .value_kind:     global_buffer
      - .address_space:  global
        .offset:         184
        .size:           8
        .value_kind:     global_buffer
      - .address_space:  global
        .offset:         192
        .size:           8
        .value_kind:     global_buffer
      - .address_space:  global
        .offset:         200
        .size:           8
        .value_kind:     global_buffer
      - .offset:         208
        .size:           4
        .value_kind:     hidden_block_count_x
      - .offset:         212
        .size:           4
        .value_kind:     hidden_block_count_y
      - .offset:         216
        .size:           4
        .value_kind:     hidden_block_count_z
      - .offset:         220
        .size:           2
        .value_kind:     hidden_group_size_x
      - .offset:         222
        .size:           2
        .value_kind:     hidden_group_size_y
      - .offset:         224
        .size:           2
        .value_kind:     hidden_group_size_z
      - .offset:         226
        .size:           2
        .value_kind:     hidden_remainder_x
      - .offset:         228
        .size:           2
        .value_kind:     hidden_remainder_y
      - .offset:         230
        .size:           2
        .value_kind:     hidden_remainder_z
      - .offset:         248
        .size:           8
        .value_kind:     hidden_global_offset_x
      - .offset:         256
        .size:           8
        .value_kind:     hidden_global_offset_y
      - .offset:         264
        .size:           8
        .value_kind:     hidden_global_offset_z
      - .offset:         272
        .size:           2
        .value_kind:     hidden_grid_dims
    .group_segment_fixed_size: 0
    .kernarg_segment_align: 8
    .kernarg_segment_size: 464
    .language:       OpenCL C
    .language_version:
      - 2
      - 0
    .max_flat_workgroup_size: 1024
    .name:           _ZL11k_bin_bcastIXadL_ZL6op_addffEE6__halfS0_S0_JPKS0_S2_S2_S2_S2_S2_S2_S2_EEvPKT0_PKT1_PT2_iii15HIP_vector_typeIjLj3EESC_SC_SC_SC_iiiiiiiiiiiDpT3_
    .private_segment_fixed_size: 0
    .sgpr_count:     46
    .sgpr_spill_count: 0
    .symbol:         _ZL11k_bin_bcastIXadL_ZL6op_addffEE6__halfS0_S0_JPKS0_S2_S2_S2_S2_S2_S2_S2_EEvPKT0_PKT1_PT2_iii15HIP_vector_typeIjLj3EESC_SC_SC_SC_iiiiiiiiiiiDpT3_.kd
    .uniform_work_group_size: 1
    .uses_dynamic_stack: false
    .vgpr_count:     19
    .vgpr_spill_count: 0
    .wavefront_size: 32
    .workgroup_processor_mode: 1
  - .args:
      - .address_space:  global
        .offset:         0
        .size:           8
        .value_kind:     global_buffer
      - .address_space:  global
        .offset:         8
        .size:           8
        .value_kind:     global_buffer
      - .address_space:  global
        .offset:         16
        .size:           8
        .value_kind:     global_buffer
      - .offset:         24
        .size:           12
        .value_kind:     by_value
      - .offset:         36
        .size:           12
        .value_kind:     by_value
      - .offset:         48
        .size:           12
        .value_kind:     by_value
      - .offset:         60
        .size:           4
        .value_kind:     by_value
      - .offset:         64
        .size:           12
        .value_kind:     by_value
      - .offset:         76
        .size:           12
        .value_kind:     by_value
      - .offset:         88
        .size:           12
        .value_kind:     by_value
      - .offset:         100
        .size:           12
        .value_kind:     by_value
      - .offset:         112
        .size:           12
        .value_kind:     by_value
      - .offset:         124
        .size:           12
        .value_kind:     by_value
      - .offset:         136
        .size:           4
        .value_kind:     by_value
      - .offset:         140
        .size:           4
        .value_kind:     by_value
      - .offset:         144
        .size:           4
        .value_kind:     by_value
      - .offset:         148
        .size:           4
        .value_kind:     by_value
      - .offset:         152
        .size:           4
        .value_kind:     by_value
      - .offset:         156
        .size:           4
        .value_kind:     by_value
      - .offset:         160
        .size:           4
        .value_kind:     by_value
      - .offset:         164
        .size:           4
        .value_kind:     by_value
      - .offset:         168
        .size:           4
        .value_kind:     by_value
      - .offset:         172
        .size:           4
        .value_kind:     by_value
      - .offset:         176
        .size:           4
        .value_kind:     by_value
      - .address_space:  global
        .offset:         184
        .size:           8
        .value_kind:     global_buffer
      - .address_space:  global
        .offset:         192
        .size:           8
        .value_kind:     global_buffer
      - .address_space:  global
        .offset:         200
        .size:           8
        .value_kind:     global_buffer
      - .address_space:  global
        .offset:         208
        .size:           8
        .value_kind:     global_buffer
      - .address_space:  global
        .offset:         216
        .size:           8
        .value_kind:     global_buffer
      - .address_space:  global
        .offset:         224
        .size:           8
        .value_kind:     global_buffer
      - .address_space:  global
        .offset:         232
        .size:           8
        .value_kind:     global_buffer
      - .address_space:  global
        .offset:         240
        .size:           8
        .value_kind:     global_buffer
      - .offset:         248
        .size:           4
        .value_kind:     hidden_block_count_x
      - .offset:         252
        .size:           4
        .value_kind:     hidden_block_count_y
      - .offset:         256
        .size:           4
        .value_kind:     hidden_block_count_z
      - .offset:         260
        .size:           2
        .value_kind:     hidden_group_size_x
      - .offset:         262
        .size:           2
        .value_kind:     hidden_group_size_y
      - .offset:         264
        .size:           2
        .value_kind:     hidden_group_size_z
      - .offset:         266
        .size:           2
        .value_kind:     hidden_remainder_x
      - .offset:         268
        .size:           2
        .value_kind:     hidden_remainder_y
      - .offset:         270
        .size:           2
        .value_kind:     hidden_remainder_z
      - .offset:         288
        .size:           8
        .value_kind:     hidden_global_offset_x
      - .offset:         296
        .size:           8
        .value_kind:     hidden_global_offset_y
      - .offset:         304
        .size:           8
        .value_kind:     hidden_global_offset_z
      - .offset:         312
        .size:           2
        .value_kind:     hidden_grid_dims
    .group_segment_fixed_size: 0
    .kernarg_segment_align: 8
    .kernarg_segment_size: 504
    .language:       OpenCL C
    .language_version:
      - 2
      - 0
    .max_flat_workgroup_size: 1024
    .name:           _ZL19k_bin_bcast_unravelIXadL_ZL6op_addffEE6__halffS0_JPKfS2_S2_S2_S2_S2_S2_S2_EEvPKT0_PKT1_PT2_15HIP_vector_typeIjLj3EESC_SC_jSC_SC_SC_SC_SC_SC_iiiiiiiiiiiDpT3_
    .private_segment_fixed_size: 0
    .sgpr_count:     30
    .sgpr_spill_count: 0
    .symbol:         _ZL19k_bin_bcast_unravelIXadL_ZL6op_addffEE6__halffS0_JPKfS2_S2_S2_S2_S2_S2_S2_EEvPKT0_PKT1_PT2_15HIP_vector_typeIjLj3EESC_SC_jSC_SC_SC_SC_SC_SC_iiiiiiiiiiiDpT3_.kd
    .uniform_work_group_size: 1
    .uses_dynamic_stack: false
    .vgpr_count:     16
    .vgpr_spill_count: 0
    .wavefront_size: 32
    .workgroup_processor_mode: 1
  - .args:
      - .address_space:  global
        .offset:         0
        .size:           8
        .value_kind:     global_buffer
      - .address_space:  global
        .offset:         8
        .size:           8
        .value_kind:     global_buffer
      - .address_space:  global
        .offset:         16
        .size:           8
        .value_kind:     global_buffer
      - .offset:         24
        .size:           4
        .value_kind:     by_value
      - .offset:         28
        .size:           4
        .value_kind:     by_value
      - .offset:         32
        .size:           4
        .value_kind:     by_value
      - .offset:         36
        .size:           12
        .value_kind:     by_value
      - .offset:         48
        .size:           12
        .value_kind:     by_value
      - .offset:         60
        .size:           12
        .value_kind:     by_value
      - .offset:         72
        .size:           12
        .value_kind:     by_value
      - .offset:         84
        .size:           12
        .value_kind:     by_value
      - .offset:         96
        .size:           4
        .value_kind:     by_value
      - .offset:         100
        .size:           4
        .value_kind:     by_value
      - .offset:         104
        .size:           4
        .value_kind:     by_value
      - .offset:         108
        .size:           4
        .value_kind:     by_value
      - .offset:         112
        .size:           4
        .value_kind:     by_value
      - .offset:         116
        .size:           4
        .value_kind:     by_value
      - .offset:         120
        .size:           4
        .value_kind:     by_value
      - .offset:         124
        .size:           4
        .value_kind:     by_value
      - .offset:         128
        .size:           4
        .value_kind:     by_value
      - .offset:         132
        .size:           4
        .value_kind:     by_value
      - .offset:         136
        .size:           4
        .value_kind:     by_value
      - .address_space:  global
        .offset:         144
        .size:           8
        .value_kind:     global_buffer
      - .address_space:  global
        .offset:         152
        .size:           8
        .value_kind:     global_buffer
      - .address_space:  global
        .offset:         160
        .size:           8
        .value_kind:     global_buffer
      - .address_space:  global
        .offset:         168
        .size:           8
        .value_kind:     global_buffer
      - .address_space:  global
        .offset:         176
        .size:           8
        .value_kind:     global_buffer
      - .address_space:  global
        .offset:         184
        .size:           8
        .value_kind:     global_buffer
      - .address_space:  global
        .offset:         192
        .size:           8
        .value_kind:     global_buffer
      - .address_space:  global
        .offset:         200
        .size:           8
        .value_kind:     global_buffer
      - .offset:         208
        .size:           4
        .value_kind:     hidden_block_count_x
      - .offset:         212
        .size:           4
        .value_kind:     hidden_block_count_y
      - .offset:         216
        .size:           4
        .value_kind:     hidden_block_count_z
      - .offset:         220
        .size:           2
        .value_kind:     hidden_group_size_x
      - .offset:         222
        .size:           2
        .value_kind:     hidden_group_size_y
      - .offset:         224
        .size:           2
        .value_kind:     hidden_group_size_z
      - .offset:         226
        .size:           2
        .value_kind:     hidden_remainder_x
      - .offset:         228
        .size:           2
        .value_kind:     hidden_remainder_y
      - .offset:         230
        .size:           2
        .value_kind:     hidden_remainder_z
      - .offset:         248
        .size:           8
        .value_kind:     hidden_global_offset_x
      - .offset:         256
        .size:           8
        .value_kind:     hidden_global_offset_y
      - .offset:         264
        .size:           8
        .value_kind:     hidden_global_offset_z
      - .offset:         272
        .size:           2
        .value_kind:     hidden_grid_dims
    .group_segment_fixed_size: 0
    .kernarg_segment_align: 8
    .kernarg_segment_size: 464
    .language:       OpenCL C
    .language_version:
      - 2
      - 0
    .max_flat_workgroup_size: 1024
    .name:           _ZL11k_bin_bcastIXadL_ZL6op_addffEE6__halffS0_JPKfS2_S2_S2_S2_S2_S2_S2_EEvPKT0_PKT1_PT2_iii15HIP_vector_typeIjLj3EESC_SC_SC_SC_iiiiiiiiiiiDpT3_
    .private_segment_fixed_size: 0
    .sgpr_count:     46
    .sgpr_spill_count: 0
    .symbol:         _ZL11k_bin_bcastIXadL_ZL6op_addffEE6__halffS0_JPKfS2_S2_S2_S2_S2_S2_S2_EEvPKT0_PKT1_PT2_iii15HIP_vector_typeIjLj3EESC_SC_SC_SC_iiiiiiiiiiiDpT3_.kd
    .uniform_work_group_size: 1
    .uses_dynamic_stack: false
    .vgpr_count:     19
    .vgpr_spill_count: 0
    .wavefront_size: 32
    .workgroup_processor_mode: 1
  - .args:
      - .address_space:  global
        .offset:         0
        .size:           8
        .value_kind:     global_buffer
      - .address_space:  global
        .offset:         8
        .size:           8
        .value_kind:     global_buffer
      - .address_space:  global
        .offset:         16
        .size:           8
        .value_kind:     global_buffer
      - .offset:         24
        .size:           12
        .value_kind:     by_value
      - .offset:         36
        .size:           12
        .value_kind:     by_value
      - .offset:         48
        .size:           12
        .value_kind:     by_value
      - .offset:         60
        .size:           4
        .value_kind:     by_value
      - .offset:         64
        .size:           12
        .value_kind:     by_value
      - .offset:         76
        .size:           12
        .value_kind:     by_value
      - .offset:         88
        .size:           12
        .value_kind:     by_value
      - .offset:         100
        .size:           12
        .value_kind:     by_value
      - .offset:         112
        .size:           12
        .value_kind:     by_value
      - .offset:         124
        .size:           12
        .value_kind:     by_value
      - .offset:         136
        .size:           4
        .value_kind:     by_value
      - .offset:         140
        .size:           4
        .value_kind:     by_value
      - .offset:         144
        .size:           4
        .value_kind:     by_value
      - .offset:         148
        .size:           4
        .value_kind:     by_value
      - .offset:         152
        .size:           4
        .value_kind:     by_value
      - .offset:         156
        .size:           4
        .value_kind:     by_value
      - .offset:         160
        .size:           4
        .value_kind:     by_value
      - .offset:         164
        .size:           4
        .value_kind:     by_value
      - .offset:         168
        .size:           4
        .value_kind:     by_value
      - .offset:         172
        .size:           4
        .value_kind:     by_value
      - .offset:         176
        .size:           4
        .value_kind:     by_value
      - .address_space:  global
        .offset:         184
        .size:           8
        .value_kind:     global_buffer
      - .address_space:  global
        .offset:         192
        .size:           8
        .value_kind:     global_buffer
      - .address_space:  global
        .offset:         200
        .size:           8
        .value_kind:     global_buffer
      - .address_space:  global
        .offset:         208
        .size:           8
        .value_kind:     global_buffer
      - .address_space:  global
        .offset:         216
        .size:           8
        .value_kind:     global_buffer
      - .address_space:  global
        .offset:         224
        .size:           8
        .value_kind:     global_buffer
      - .address_space:  global
        .offset:         232
        .size:           8
        .value_kind:     global_buffer
      - .address_space:  global
        .offset:         240
        .size:           8
        .value_kind:     global_buffer
      - .offset:         248
        .size:           4
        .value_kind:     hidden_block_count_x
      - .offset:         252
        .size:           4
        .value_kind:     hidden_block_count_y
      - .offset:         256
        .size:           4
        .value_kind:     hidden_block_count_z
      - .offset:         260
        .size:           2
        .value_kind:     hidden_group_size_x
      - .offset:         262
        .size:           2
        .value_kind:     hidden_group_size_y
      - .offset:         264
        .size:           2
        .value_kind:     hidden_group_size_z
      - .offset:         266
        .size:           2
        .value_kind:     hidden_remainder_x
      - .offset:         268
        .size:           2
        .value_kind:     hidden_remainder_y
      - .offset:         270
        .size:           2
        .value_kind:     hidden_remainder_z
      - .offset:         288
        .size:           8
        .value_kind:     hidden_global_offset_x
      - .offset:         296
        .size:           8
        .value_kind:     hidden_global_offset_y
      - .offset:         304
        .size:           8
        .value_kind:     hidden_global_offset_z
      - .offset:         312
        .size:           2
        .value_kind:     hidden_grid_dims
    .group_segment_fixed_size: 0
    .kernarg_segment_align: 8
    .kernarg_segment_size: 504
    .language:       OpenCL C
    .language_version:
      - 2
      - 0
    .max_flat_workgroup_size: 1024
    .name:           _ZL19k_bin_bcast_unravelIXadL_ZL6op_addffEE6__halfffJPKfS2_S2_S2_S2_S2_S2_S2_EEvPKT0_PKT1_PT2_15HIP_vector_typeIjLj3EESC_SC_jSC_SC_SC_SC_SC_SC_iiiiiiiiiiiDpT3_
    .private_segment_fixed_size: 0
    .sgpr_count:     30
    .sgpr_spill_count: 0
    .symbol:         _ZL19k_bin_bcast_unravelIXadL_ZL6op_addffEE6__halfffJPKfS2_S2_S2_S2_S2_S2_S2_EEvPKT0_PKT1_PT2_15HIP_vector_typeIjLj3EESC_SC_jSC_SC_SC_SC_SC_SC_iiiiiiiiiiiDpT3_.kd
    .uniform_work_group_size: 1
    .uses_dynamic_stack: false
    .vgpr_count:     16
    .vgpr_spill_count: 0
    .wavefront_size: 32
    .workgroup_processor_mode: 1
  - .args:
      - .address_space:  global
        .offset:         0
        .size:           8
        .value_kind:     global_buffer
      - .address_space:  global
        .offset:         8
        .size:           8
        .value_kind:     global_buffer
      - .address_space:  global
        .offset:         16
        .size:           8
        .value_kind:     global_buffer
      - .offset:         24
        .size:           4
        .value_kind:     by_value
      - .offset:         28
        .size:           4
        .value_kind:     by_value
      - .offset:         32
        .size:           4
        .value_kind:     by_value
      - .offset:         36
        .size:           12
        .value_kind:     by_value
      - .offset:         48
        .size:           12
        .value_kind:     by_value
      - .offset:         60
        .size:           12
        .value_kind:     by_value
      - .offset:         72
        .size:           12
        .value_kind:     by_value
      - .offset:         84
        .size:           12
        .value_kind:     by_value
      - .offset:         96
        .size:           4
        .value_kind:     by_value
      - .offset:         100
        .size:           4
        .value_kind:     by_value
      - .offset:         104
        .size:           4
        .value_kind:     by_value
      - .offset:         108
        .size:           4
        .value_kind:     by_value
      - .offset:         112
        .size:           4
        .value_kind:     by_value
      - .offset:         116
        .size:           4
        .value_kind:     by_value
      - .offset:         120
        .size:           4
        .value_kind:     by_value
      - .offset:         124
        .size:           4
        .value_kind:     by_value
      - .offset:         128
        .size:           4
        .value_kind:     by_value
      - .offset:         132
        .size:           4
        .value_kind:     by_value
      - .offset:         136
        .size:           4
        .value_kind:     by_value
      - .address_space:  global
        .offset:         144
        .size:           8
        .value_kind:     global_buffer
      - .address_space:  global
        .offset:         152
        .size:           8
        .value_kind:     global_buffer
      - .address_space:  global
        .offset:         160
        .size:           8
        .value_kind:     global_buffer
      - .address_space:  global
        .offset:         168
        .size:           8
        .value_kind:     global_buffer
      - .address_space:  global
        .offset:         176
        .size:           8
        .value_kind:     global_buffer
      - .address_space:  global
        .offset:         184
        .size:           8
        .value_kind:     global_buffer
      - .address_space:  global
        .offset:         192
        .size:           8
        .value_kind:     global_buffer
      - .address_space:  global
        .offset:         200
        .size:           8
        .value_kind:     global_buffer
      - .offset:         208
        .size:           4
        .value_kind:     hidden_block_count_x
      - .offset:         212
        .size:           4
        .value_kind:     hidden_block_count_y
      - .offset:         216
        .size:           4
        .value_kind:     hidden_block_count_z
      - .offset:         220
        .size:           2
        .value_kind:     hidden_group_size_x
      - .offset:         222
        .size:           2
        .value_kind:     hidden_group_size_y
      - .offset:         224
        .size:           2
        .value_kind:     hidden_group_size_z
      - .offset:         226
        .size:           2
        .value_kind:     hidden_remainder_x
      - .offset:         228
        .size:           2
        .value_kind:     hidden_remainder_y
      - .offset:         230
        .size:           2
        .value_kind:     hidden_remainder_z
      - .offset:         248
        .size:           8
        .value_kind:     hidden_global_offset_x
      - .offset:         256
        .size:           8
        .value_kind:     hidden_global_offset_y
      - .offset:         264
        .size:           8
        .value_kind:     hidden_global_offset_z
      - .offset:         272
        .size:           2
        .value_kind:     hidden_grid_dims
    .group_segment_fixed_size: 0
    .kernarg_segment_align: 8
    .kernarg_segment_size: 464
    .language:       OpenCL C
    .language_version:
      - 2
      - 0
    .max_flat_workgroup_size: 1024
    .name:           _ZL11k_bin_bcastIXadL_ZL6op_addffEE6__halfffJPKfS2_S2_S2_S2_S2_S2_S2_EEvPKT0_PKT1_PT2_iii15HIP_vector_typeIjLj3EESC_SC_SC_SC_iiiiiiiiiiiDpT3_
    .private_segment_fixed_size: 0
    .sgpr_count:     46
    .sgpr_spill_count: 0
    .symbol:         _ZL11k_bin_bcastIXadL_ZL6op_addffEE6__halfffJPKfS2_S2_S2_S2_S2_S2_S2_EEvPKT0_PKT1_PT2_iii15HIP_vector_typeIjLj3EESC_SC_SC_SC_iiiiiiiiiiiDpT3_.kd
    .uniform_work_group_size: 1
    .uses_dynamic_stack: false
    .vgpr_count:     19
    .vgpr_spill_count: 0
    .wavefront_size: 32
    .workgroup_processor_mode: 1
  - .args:
      - .address_space:  global
        .offset:         0
        .size:           8
        .value_kind:     global_buffer
      - .address_space:  global
        .offset:         8
        .size:           8
        .value_kind:     global_buffer
      - .address_space:  global
        .offset:         16
        .size:           8
        .value_kind:     global_buffer
      - .offset:         24
        .size:           12
        .value_kind:     by_value
      - .offset:         36
        .size:           12
        .value_kind:     by_value
      - .offset:         48
        .size:           12
        .value_kind:     by_value
      - .offset:         60
        .size:           4
        .value_kind:     by_value
      - .offset:         64
        .size:           12
        .value_kind:     by_value
      - .offset:         76
        .size:           12
        .value_kind:     by_value
      - .offset:         88
        .size:           12
        .value_kind:     by_value
      - .offset:         100
        .size:           12
        .value_kind:     by_value
      - .offset:         112
        .size:           12
        .value_kind:     by_value
      - .offset:         124
        .size:           12
        .value_kind:     by_value
      - .offset:         136
        .size:           4
        .value_kind:     by_value
      - .offset:         140
        .size:           4
        .value_kind:     by_value
      - .offset:         144
        .size:           4
        .value_kind:     by_value
      - .offset:         148
        .size:           4
        .value_kind:     by_value
      - .offset:         152
        .size:           4
        .value_kind:     by_value
      - .offset:         156
        .size:           4
        .value_kind:     by_value
      - .offset:         160
        .size:           4
        .value_kind:     by_value
      - .offset:         164
        .size:           4
        .value_kind:     by_value
      - .offset:         168
        .size:           4
        .value_kind:     by_value
      - .offset:         172
        .size:           4
        .value_kind:     by_value
      - .offset:         176
        .size:           4
        .value_kind:     by_value
      - .address_space:  global
        .offset:         184
        .size:           8
        .value_kind:     global_buffer
      - .address_space:  global
        .offset:         192
        .size:           8
        .value_kind:     global_buffer
      - .offset:         200
        .size:           4
        .value_kind:     hidden_block_count_x
      - .offset:         204
        .size:           4
        .value_kind:     hidden_block_count_y
      - .offset:         208
        .size:           4
        .value_kind:     hidden_block_count_z
      - .offset:         212
        .size:           2
        .value_kind:     hidden_group_size_x
      - .offset:         214
        .size:           2
        .value_kind:     hidden_group_size_y
      - .offset:         216
        .size:           2
        .value_kind:     hidden_group_size_z
      - .offset:         218
        .size:           2
        .value_kind:     hidden_remainder_x
      - .offset:         220
        .size:           2
        .value_kind:     hidden_remainder_y
      - .offset:         222
        .size:           2
        .value_kind:     hidden_remainder_z
      - .offset:         240
        .size:           8
        .value_kind:     hidden_global_offset_x
      - .offset:         248
        .size:           8
        .value_kind:     hidden_global_offset_y
      - .offset:         256
        .size:           8
        .value_kind:     hidden_global_offset_z
      - .offset:         264
        .size:           2
        .value_kind:     hidden_grid_dims
    .group_segment_fixed_size: 0
    .kernarg_segment_align: 8
    .kernarg_segment_size: 456
    .language:       OpenCL C
    .language_version:
      - 2
      - 0
    .max_flat_workgroup_size: 1024
    .name:           _ZL19k_bin_bcast_unravelIXadL_ZL6op_mulffEEfffJPKfS1_EEvPKT0_PKT1_PT2_15HIP_vector_typeIjLj3EESB_SB_jSB_SB_SB_SB_SB_SB_iiiiiiiiiiiDpT3_
    .private_segment_fixed_size: 0
    .sgpr_count:     30
    .sgpr_spill_count: 0
    .symbol:         _ZL19k_bin_bcast_unravelIXadL_ZL6op_mulffEEfffJPKfS1_EEvPKT0_PKT1_PT2_15HIP_vector_typeIjLj3EESB_SB_jSB_SB_SB_SB_SB_SB_iiiiiiiiiiiDpT3_.kd
    .uniform_work_group_size: 1
    .uses_dynamic_stack: false
    .vgpr_count:     9
    .vgpr_spill_count: 0
    .wavefront_size: 32
    .workgroup_processor_mode: 1
  - .args:
      - .address_space:  global
        .offset:         0
        .size:           8
        .value_kind:     global_buffer
      - .address_space:  global
        .offset:         8
        .size:           8
        .value_kind:     global_buffer
      - .address_space:  global
        .offset:         16
        .size:           8
        .value_kind:     global_buffer
      - .offset:         24
        .size:           4
        .value_kind:     by_value
      - .offset:         28
        .size:           4
        .value_kind:     by_value
      - .offset:         32
        .size:           4
        .value_kind:     by_value
      - .offset:         36
        .size:           12
        .value_kind:     by_value
      - .offset:         48
        .size:           12
        .value_kind:     by_value
      - .offset:         60
        .size:           12
        .value_kind:     by_value
      - .offset:         72
        .size:           12
        .value_kind:     by_value
      - .offset:         84
        .size:           12
        .value_kind:     by_value
      - .offset:         96
        .size:           4
        .value_kind:     by_value
      - .offset:         100
        .size:           4
        .value_kind:     by_value
      - .offset:         104
        .size:           4
        .value_kind:     by_value
      - .offset:         108
        .size:           4
        .value_kind:     by_value
      - .offset:         112
        .size:           4
        .value_kind:     by_value
      - .offset:         116
        .size:           4
        .value_kind:     by_value
      - .offset:         120
        .size:           4
        .value_kind:     by_value
      - .offset:         124
        .size:           4
        .value_kind:     by_value
      - .offset:         128
        .size:           4
        .value_kind:     by_value
      - .offset:         132
        .size:           4
        .value_kind:     by_value
      - .offset:         136
        .size:           4
        .value_kind:     by_value
      - .address_space:  global
        .offset:         144
        .size:           8
        .value_kind:     global_buffer
      - .address_space:  global
        .offset:         152
        .size:           8
        .value_kind:     global_buffer
      - .offset:         160
        .size:           4
        .value_kind:     hidden_block_count_x
      - .offset:         164
        .size:           4
        .value_kind:     hidden_block_count_y
      - .offset:         168
        .size:           4
        .value_kind:     hidden_block_count_z
      - .offset:         172
        .size:           2
        .value_kind:     hidden_group_size_x
      - .offset:         174
        .size:           2
        .value_kind:     hidden_group_size_y
      - .offset:         176
        .size:           2
        .value_kind:     hidden_group_size_z
      - .offset:         178
        .size:           2
        .value_kind:     hidden_remainder_x
      - .offset:         180
        .size:           2
        .value_kind:     hidden_remainder_y
      - .offset:         182
        .size:           2
        .value_kind:     hidden_remainder_z
      - .offset:         200
        .size:           8
        .value_kind:     hidden_global_offset_x
      - .offset:         208
        .size:           8
        .value_kind:     hidden_global_offset_y
      - .offset:         216
        .size:           8
        .value_kind:     hidden_global_offset_z
      - .offset:         224
        .size:           2
        .value_kind:     hidden_grid_dims
    .group_segment_fixed_size: 0
    .kernarg_segment_align: 8
    .kernarg_segment_size: 416
    .language:       OpenCL C
    .language_version:
      - 2
      - 0
    .max_flat_workgroup_size: 1024
    .name:           _ZL11k_bin_bcastIXadL_ZL6op_mulffEEfffJPKfS1_EEvPKT0_PKT1_PT2_iii15HIP_vector_typeIjLj3EESB_SB_SB_SB_iiiiiiiiiiiDpT3_
    .private_segment_fixed_size: 0
    .sgpr_count:     46
    .sgpr_spill_count: 0
    .symbol:         _ZL11k_bin_bcastIXadL_ZL6op_mulffEEfffJPKfS1_EEvPKT0_PKT1_PT2_iii15HIP_vector_typeIjLj3EESB_SB_SB_SB_iiiiiiiiiiiDpT3_.kd
    .uniform_work_group_size: 1
    .uses_dynamic_stack: false
    .vgpr_count:     17
    .vgpr_spill_count: 0
    .wavefront_size: 32
    .workgroup_processor_mode: 1
  - .args:
      - .address_space:  global
        .offset:         0
        .size:           8
        .value_kind:     global_buffer
      - .address_space:  global
        .offset:         8
        .size:           8
        .value_kind:     global_buffer
      - .address_space:  global
        .offset:         16
        .size:           8
        .value_kind:     global_buffer
      - .offset:         24
        .size:           12
        .value_kind:     by_value
      - .offset:         36
        .size:           12
        .value_kind:     by_value
      - .offset:         48
        .size:           12
        .value_kind:     by_value
      - .offset:         60
        .size:           4
        .value_kind:     by_value
      - .offset:         64
        .size:           12
        .value_kind:     by_value
      - .offset:         76
        .size:           12
        .value_kind:     by_value
      - .offset:         88
        .size:           12
        .value_kind:     by_value
      - .offset:         100
        .size:           12
        .value_kind:     by_value
      - .offset:         112
        .size:           12
        .value_kind:     by_value
      - .offset:         124
        .size:           12
        .value_kind:     by_value
      - .offset:         136
        .size:           4
        .value_kind:     by_value
      - .offset:         140
        .size:           4
        .value_kind:     by_value
      - .offset:         144
        .size:           4
        .value_kind:     by_value
      - .offset:         148
        .size:           4
        .value_kind:     by_value
      - .offset:         152
        .size:           4
        .value_kind:     by_value
      - .offset:         156
        .size:           4
        .value_kind:     by_value
      - .offset:         160
        .size:           4
        .value_kind:     by_value
      - .offset:         164
        .size:           4
        .value_kind:     by_value
      - .offset:         168
        .size:           4
        .value_kind:     by_value
      - .offset:         172
        .size:           4
        .value_kind:     by_value
      - .offset:         176
        .size:           4
        .value_kind:     by_value
      - .address_space:  global
        .offset:         184
        .size:           8
        .value_kind:     global_buffer
      - .address_space:  global
        .offset:         192
        .size:           8
        .value_kind:     global_buffer
      - .offset:         200
        .size:           4
        .value_kind:     hidden_block_count_x
      - .offset:         204
        .size:           4
        .value_kind:     hidden_block_count_y
      - .offset:         208
        .size:           4
        .value_kind:     hidden_block_count_z
      - .offset:         212
        .size:           2
        .value_kind:     hidden_group_size_x
      - .offset:         214
        .size:           2
        .value_kind:     hidden_group_size_y
      - .offset:         216
        .size:           2
        .value_kind:     hidden_group_size_z
      - .offset:         218
        .size:           2
        .value_kind:     hidden_remainder_x
      - .offset:         220
        .size:           2
        .value_kind:     hidden_remainder_y
      - .offset:         222
        .size:           2
        .value_kind:     hidden_remainder_z
      - .offset:         240
        .size:           8
        .value_kind:     hidden_global_offset_x
      - .offset:         248
        .size:           8
        .value_kind:     hidden_global_offset_y
      - .offset:         256
        .size:           8
        .value_kind:     hidden_global_offset_z
      - .offset:         264
        .size:           2
        .value_kind:     hidden_grid_dims
    .group_segment_fixed_size: 0
    .kernarg_segment_align: 8
    .kernarg_segment_size: 456
    .language:       OpenCL C
    .language_version:
      - 2
      - 0
    .max_flat_workgroup_size: 1024
    .name:           _ZL19k_bin_bcast_unravelIXadL_ZL6op_mulffEE6__halfS0_S0_JPKS0_S2_EEvPKT0_PKT1_PT2_15HIP_vector_typeIjLj3EESC_SC_jSC_SC_SC_SC_SC_SC_iiiiiiiiiiiDpT3_
    .private_segment_fixed_size: 0
    .sgpr_count:     30
    .sgpr_spill_count: 0
    .symbol:         _ZL19k_bin_bcast_unravelIXadL_ZL6op_mulffEE6__halfS0_S0_JPKS0_S2_EEvPKT0_PKT1_PT2_15HIP_vector_typeIjLj3EESC_SC_jSC_SC_SC_SC_SC_SC_iiiiiiiiiiiDpT3_.kd
    .uniform_work_group_size: 1
    .uses_dynamic_stack: false
    .vgpr_count:     9
    .vgpr_spill_count: 0
    .wavefront_size: 32
    .workgroup_processor_mode: 1
  - .args:
      - .address_space:  global
        .offset:         0
        .size:           8
        .value_kind:     global_buffer
      - .address_space:  global
        .offset:         8
        .size:           8
        .value_kind:     global_buffer
      - .address_space:  global
        .offset:         16
        .size:           8
        .value_kind:     global_buffer
      - .offset:         24
        .size:           4
        .value_kind:     by_value
      - .offset:         28
        .size:           4
        .value_kind:     by_value
      - .offset:         32
        .size:           4
        .value_kind:     by_value
      - .offset:         36
        .size:           12
        .value_kind:     by_value
      - .offset:         48
        .size:           12
        .value_kind:     by_value
      - .offset:         60
        .size:           12
        .value_kind:     by_value
      - .offset:         72
        .size:           12
        .value_kind:     by_value
      - .offset:         84
        .size:           12
        .value_kind:     by_value
      - .offset:         96
        .size:           4
        .value_kind:     by_value
      - .offset:         100
        .size:           4
        .value_kind:     by_value
      - .offset:         104
        .size:           4
        .value_kind:     by_value
      - .offset:         108
        .size:           4
        .value_kind:     by_value
      - .offset:         112
        .size:           4
        .value_kind:     by_value
      - .offset:         116
        .size:           4
        .value_kind:     by_value
      - .offset:         120
        .size:           4
        .value_kind:     by_value
      - .offset:         124
        .size:           4
        .value_kind:     by_value
      - .offset:         128
        .size:           4
        .value_kind:     by_value
      - .offset:         132
        .size:           4
        .value_kind:     by_value
      - .offset:         136
        .size:           4
        .value_kind:     by_value
      - .address_space:  global
        .offset:         144
        .size:           8
        .value_kind:     global_buffer
      - .address_space:  global
        .offset:         152
        .size:           8
        .value_kind:     global_buffer
      - .offset:         160
        .size:           4
        .value_kind:     hidden_block_count_x
      - .offset:         164
        .size:           4
        .value_kind:     hidden_block_count_y
      - .offset:         168
        .size:           4
        .value_kind:     hidden_block_count_z
      - .offset:         172
        .size:           2
        .value_kind:     hidden_group_size_x
      - .offset:         174
        .size:           2
        .value_kind:     hidden_group_size_y
      - .offset:         176
        .size:           2
        .value_kind:     hidden_group_size_z
      - .offset:         178
        .size:           2
        .value_kind:     hidden_remainder_x
      - .offset:         180
        .size:           2
        .value_kind:     hidden_remainder_y
      - .offset:         182
        .size:           2
        .value_kind:     hidden_remainder_z
      - .offset:         200
        .size:           8
        .value_kind:     hidden_global_offset_x
      - .offset:         208
        .size:           8
        .value_kind:     hidden_global_offset_y
      - .offset:         216
        .size:           8
        .value_kind:     hidden_global_offset_z
      - .offset:         224
        .size:           2
        .value_kind:     hidden_grid_dims
    .group_segment_fixed_size: 0
    .kernarg_segment_align: 8
    .kernarg_segment_size: 416
    .language:       OpenCL C
    .language_version:
      - 2
      - 0
    .max_flat_workgroup_size: 1024
    .name:           _ZL11k_bin_bcastIXadL_ZL6op_mulffEE6__halfS0_S0_JPKS0_S2_EEvPKT0_PKT1_PT2_iii15HIP_vector_typeIjLj3EESC_SC_SC_SC_iiiiiiiiiiiDpT3_
    .private_segment_fixed_size: 0
    .sgpr_count:     46
    .sgpr_spill_count: 0
    .symbol:         _ZL11k_bin_bcastIXadL_ZL6op_mulffEE6__halfS0_S0_JPKS0_S2_EEvPKT0_PKT1_PT2_iii15HIP_vector_typeIjLj3EESC_SC_SC_SC_iiiiiiiiiiiDpT3_.kd
    .uniform_work_group_size: 1
    .uses_dynamic_stack: false
    .vgpr_count:     17
    .vgpr_spill_count: 0
    .wavefront_size: 32
    .workgroup_processor_mode: 1
  - .args:
      - .address_space:  global
        .offset:         0
        .size:           8
        .value_kind:     global_buffer
      - .address_space:  global
        .offset:         8
        .size:           8
        .value_kind:     global_buffer
      - .address_space:  global
        .offset:         16
        .size:           8
        .value_kind:     global_buffer
      - .offset:         24
        .size:           12
        .value_kind:     by_value
      - .offset:         36
        .size:           12
        .value_kind:     by_value
      - .offset:         48
        .size:           12
        .value_kind:     by_value
      - .offset:         60
        .size:           4
        .value_kind:     by_value
      - .offset:         64
        .size:           12
        .value_kind:     by_value
      - .offset:         76
        .size:           12
        .value_kind:     by_value
      - .offset:         88
        .size:           12
        .value_kind:     by_value
      - .offset:         100
        .size:           12
        .value_kind:     by_value
      - .offset:         112
        .size:           12
        .value_kind:     by_value
      - .offset:         124
        .size:           12
        .value_kind:     by_value
      - .offset:         136
        .size:           4
        .value_kind:     by_value
      - .offset:         140
        .size:           4
        .value_kind:     by_value
      - .offset:         144
        .size:           4
        .value_kind:     by_value
      - .offset:         148
        .size:           4
        .value_kind:     by_value
      - .offset:         152
        .size:           4
        .value_kind:     by_value
      - .offset:         156
        .size:           4
        .value_kind:     by_value
      - .offset:         160
        .size:           4
        .value_kind:     by_value
      - .offset:         164
        .size:           4
        .value_kind:     by_value
      - .offset:         168
        .size:           4
        .value_kind:     by_value
      - .offset:         172
        .size:           4
        .value_kind:     by_value
      - .offset:         176
        .size:           4
        .value_kind:     by_value
      - .address_space:  global
        .offset:         184
        .size:           8
        .value_kind:     global_buffer
      - .address_space:  global
        .offset:         192
        .size:           8
        .value_kind:     global_buffer
      - .offset:         200
        .size:           4
        .value_kind:     hidden_block_count_x
      - .offset:         204
        .size:           4
        .value_kind:     hidden_block_count_y
      - .offset:         208
        .size:           4
        .value_kind:     hidden_block_count_z
      - .offset:         212
        .size:           2
        .value_kind:     hidden_group_size_x
      - .offset:         214
        .size:           2
        .value_kind:     hidden_group_size_y
      - .offset:         216
        .size:           2
        .value_kind:     hidden_group_size_z
      - .offset:         218
        .size:           2
        .value_kind:     hidden_remainder_x
      - .offset:         220
        .size:           2
        .value_kind:     hidden_remainder_y
      - .offset:         222
        .size:           2
        .value_kind:     hidden_remainder_z
      - .offset:         240
        .size:           8
        .value_kind:     hidden_global_offset_x
      - .offset:         248
        .size:           8
        .value_kind:     hidden_global_offset_y
      - .offset:         256
        .size:           8
        .value_kind:     hidden_global_offset_z
      - .offset:         264
        .size:           2
        .value_kind:     hidden_grid_dims
    .group_segment_fixed_size: 0
    .kernarg_segment_align: 8
    .kernarg_segment_size: 456
    .language:       OpenCL C
    .language_version:
      - 2
      - 0
    .max_flat_workgroup_size: 1024
    .name:           _ZL19k_bin_bcast_unravelIXadL_ZL6op_mulffEE6__halffS0_JPKfS2_EEvPKT0_PKT1_PT2_15HIP_vector_typeIjLj3EESC_SC_jSC_SC_SC_SC_SC_SC_iiiiiiiiiiiDpT3_
    .private_segment_fixed_size: 0
    .sgpr_count:     30
    .sgpr_spill_count: 0
    .symbol:         _ZL19k_bin_bcast_unravelIXadL_ZL6op_mulffEE6__halffS0_JPKfS2_EEvPKT0_PKT1_PT2_15HIP_vector_typeIjLj3EESC_SC_jSC_SC_SC_SC_SC_SC_iiiiiiiiiiiDpT3_.kd
    .uniform_work_group_size: 1
    .uses_dynamic_stack: false
    .vgpr_count:     9
    .vgpr_spill_count: 0
    .wavefront_size: 32
    .workgroup_processor_mode: 1
  - .args:
      - .address_space:  global
        .offset:         0
        .size:           8
        .value_kind:     global_buffer
      - .address_space:  global
        .offset:         8
        .size:           8
        .value_kind:     global_buffer
      - .address_space:  global
        .offset:         16
        .size:           8
        .value_kind:     global_buffer
      - .offset:         24
        .size:           4
        .value_kind:     by_value
      - .offset:         28
        .size:           4
        .value_kind:     by_value
      - .offset:         32
        .size:           4
        .value_kind:     by_value
      - .offset:         36
        .size:           12
        .value_kind:     by_value
      - .offset:         48
        .size:           12
        .value_kind:     by_value
      - .offset:         60
        .size:           12
        .value_kind:     by_value
      - .offset:         72
        .size:           12
        .value_kind:     by_value
      - .offset:         84
        .size:           12
        .value_kind:     by_value
      - .offset:         96
        .size:           4
        .value_kind:     by_value
      - .offset:         100
        .size:           4
        .value_kind:     by_value
      - .offset:         104
        .size:           4
        .value_kind:     by_value
      - .offset:         108
        .size:           4
        .value_kind:     by_value
      - .offset:         112
        .size:           4
        .value_kind:     by_value
      - .offset:         116
        .size:           4
        .value_kind:     by_value
      - .offset:         120
        .size:           4
        .value_kind:     by_value
      - .offset:         124
        .size:           4
        .value_kind:     by_value
      - .offset:         128
        .size:           4
        .value_kind:     by_value
      - .offset:         132
        .size:           4
        .value_kind:     by_value
      - .offset:         136
        .size:           4
        .value_kind:     by_value
      - .address_space:  global
        .offset:         144
        .size:           8
        .value_kind:     global_buffer
      - .address_space:  global
        .offset:         152
        .size:           8
        .value_kind:     global_buffer
      - .offset:         160
        .size:           4
        .value_kind:     hidden_block_count_x
      - .offset:         164
        .size:           4
        .value_kind:     hidden_block_count_y
      - .offset:         168
        .size:           4
        .value_kind:     hidden_block_count_z
      - .offset:         172
        .size:           2
        .value_kind:     hidden_group_size_x
      - .offset:         174
        .size:           2
        .value_kind:     hidden_group_size_y
      - .offset:         176
        .size:           2
        .value_kind:     hidden_group_size_z
      - .offset:         178
        .size:           2
        .value_kind:     hidden_remainder_x
      - .offset:         180
        .size:           2
        .value_kind:     hidden_remainder_y
      - .offset:         182
        .size:           2
        .value_kind:     hidden_remainder_z
      - .offset:         200
        .size:           8
        .value_kind:     hidden_global_offset_x
      - .offset:         208
        .size:           8
        .value_kind:     hidden_global_offset_y
      - .offset:         216
        .size:           8
        .value_kind:     hidden_global_offset_z
      - .offset:         224
        .size:           2
        .value_kind:     hidden_grid_dims
    .group_segment_fixed_size: 0
    .kernarg_segment_align: 8
    .kernarg_segment_size: 416
    .language:       OpenCL C
    .language_version:
      - 2
      - 0
    .max_flat_workgroup_size: 1024
    .name:           _ZL11k_bin_bcastIXadL_ZL6op_mulffEE6__halffS0_JPKfS2_EEvPKT0_PKT1_PT2_iii15HIP_vector_typeIjLj3EESC_SC_SC_SC_iiiiiiiiiiiDpT3_
    .private_segment_fixed_size: 0
    .sgpr_count:     46
    .sgpr_spill_count: 0
    .symbol:         _ZL11k_bin_bcastIXadL_ZL6op_mulffEE6__halffS0_JPKfS2_EEvPKT0_PKT1_PT2_iii15HIP_vector_typeIjLj3EESC_SC_SC_SC_iiiiiiiiiiiDpT3_.kd
    .uniform_work_group_size: 1
    .uses_dynamic_stack: false
    .vgpr_count:     17
    .vgpr_spill_count: 0
    .wavefront_size: 32
    .workgroup_processor_mode: 1
  - .args:
      - .address_space:  global
        .offset:         0
        .size:           8
        .value_kind:     global_buffer
      - .address_space:  global
        .offset:         8
        .size:           8
        .value_kind:     global_buffer
      - .address_space:  global
        .offset:         16
        .size:           8
        .value_kind:     global_buffer
      - .offset:         24
        .size:           12
        .value_kind:     by_value
      - .offset:         36
        .size:           12
        .value_kind:     by_value
      - .offset:         48
        .size:           12
        .value_kind:     by_value
      - .offset:         60
        .size:           4
        .value_kind:     by_value
      - .offset:         64
        .size:           12
        .value_kind:     by_value
      - .offset:         76
        .size:           12
        .value_kind:     by_value
      - .offset:         88
        .size:           12
        .value_kind:     by_value
      - .offset:         100
        .size:           12
        .value_kind:     by_value
      - .offset:         112
        .size:           12
        .value_kind:     by_value
      - .offset:         124
        .size:           12
        .value_kind:     by_value
      - .offset:         136
        .size:           4
        .value_kind:     by_value
      - .offset:         140
        .size:           4
        .value_kind:     by_value
      - .offset:         144
        .size:           4
        .value_kind:     by_value
      - .offset:         148
        .size:           4
        .value_kind:     by_value
      - .offset:         152
        .size:           4
        .value_kind:     by_value
      - .offset:         156
        .size:           4
        .value_kind:     by_value
      - .offset:         160
        .size:           4
        .value_kind:     by_value
      - .offset:         164
        .size:           4
        .value_kind:     by_value
      - .offset:         168
        .size:           4
        .value_kind:     by_value
      - .offset:         172
        .size:           4
        .value_kind:     by_value
      - .offset:         176
        .size:           4
        .value_kind:     by_value
      - .address_space:  global
        .offset:         184
        .size:           8
        .value_kind:     global_buffer
      - .address_space:  global
        .offset:         192
        .size:           8
        .value_kind:     global_buffer
      - .offset:         200
        .size:           4
        .value_kind:     hidden_block_count_x
      - .offset:         204
        .size:           4
        .value_kind:     hidden_block_count_y
      - .offset:         208
        .size:           4
        .value_kind:     hidden_block_count_z
      - .offset:         212
        .size:           2
        .value_kind:     hidden_group_size_x
      - .offset:         214
        .size:           2
        .value_kind:     hidden_group_size_y
      - .offset:         216
        .size:           2
        .value_kind:     hidden_group_size_z
      - .offset:         218
        .size:           2
        .value_kind:     hidden_remainder_x
      - .offset:         220
        .size:           2
        .value_kind:     hidden_remainder_y
      - .offset:         222
        .size:           2
        .value_kind:     hidden_remainder_z
      - .offset:         240
        .size:           8
        .value_kind:     hidden_global_offset_x
      - .offset:         248
        .size:           8
        .value_kind:     hidden_global_offset_y
      - .offset:         256
        .size:           8
        .value_kind:     hidden_global_offset_z
      - .offset:         264
        .size:           2
        .value_kind:     hidden_grid_dims
    .group_segment_fixed_size: 0
    .kernarg_segment_align: 8
    .kernarg_segment_size: 456
    .language:       OpenCL C
    .language_version:
      - 2
      - 0
    .max_flat_workgroup_size: 1024
    .name:           _ZL19k_bin_bcast_unravelIXadL_ZL6op_mulffEE6__halfffJPKfS2_EEvPKT0_PKT1_PT2_15HIP_vector_typeIjLj3EESC_SC_jSC_SC_SC_SC_SC_SC_iiiiiiiiiiiDpT3_
    .private_segment_fixed_size: 0
    .sgpr_count:     30
    .sgpr_spill_count: 0
    .symbol:         _ZL19k_bin_bcast_unravelIXadL_ZL6op_mulffEE6__halfffJPKfS2_EEvPKT0_PKT1_PT2_15HIP_vector_typeIjLj3EESC_SC_jSC_SC_SC_SC_SC_SC_iiiiiiiiiiiDpT3_.kd
    .uniform_work_group_size: 1
    .uses_dynamic_stack: false
    .vgpr_count:     9
    .vgpr_spill_count: 0
    .wavefront_size: 32
    .workgroup_processor_mode: 1
  - .args:
      - .address_space:  global
        .offset:         0
        .size:           8
        .value_kind:     global_buffer
      - .address_space:  global
        .offset:         8
        .size:           8
        .value_kind:     global_buffer
      - .address_space:  global
        .offset:         16
        .size:           8
        .value_kind:     global_buffer
      - .offset:         24
        .size:           4
        .value_kind:     by_value
      - .offset:         28
        .size:           4
        .value_kind:     by_value
      - .offset:         32
        .size:           4
        .value_kind:     by_value
      - .offset:         36
        .size:           12
        .value_kind:     by_value
      - .offset:         48
        .size:           12
        .value_kind:     by_value
      - .offset:         60
        .size:           12
        .value_kind:     by_value
      - .offset:         72
        .size:           12
        .value_kind:     by_value
      - .offset:         84
        .size:           12
        .value_kind:     by_value
      - .offset:         96
        .size:           4
        .value_kind:     by_value
      - .offset:         100
        .size:           4
        .value_kind:     by_value
      - .offset:         104
        .size:           4
        .value_kind:     by_value
      - .offset:         108
        .size:           4
        .value_kind:     by_value
      - .offset:         112
        .size:           4
        .value_kind:     by_value
      - .offset:         116
        .size:           4
        .value_kind:     by_value
      - .offset:         120
        .size:           4
        .value_kind:     by_value
      - .offset:         124
        .size:           4
        .value_kind:     by_value
      - .offset:         128
        .size:           4
        .value_kind:     by_value
      - .offset:         132
        .size:           4
        .value_kind:     by_value
      - .offset:         136
        .size:           4
        .value_kind:     by_value
      - .address_space:  global
        .offset:         144
        .size:           8
        .value_kind:     global_buffer
      - .address_space:  global
        .offset:         152
        .size:           8
        .value_kind:     global_buffer
      - .offset:         160
        .size:           4
        .value_kind:     hidden_block_count_x
      - .offset:         164
        .size:           4
        .value_kind:     hidden_block_count_y
      - .offset:         168
        .size:           4
        .value_kind:     hidden_block_count_z
      - .offset:         172
        .size:           2
        .value_kind:     hidden_group_size_x
      - .offset:         174
        .size:           2
        .value_kind:     hidden_group_size_y
      - .offset:         176
        .size:           2
        .value_kind:     hidden_group_size_z
      - .offset:         178
        .size:           2
        .value_kind:     hidden_remainder_x
      - .offset:         180
        .size:           2
        .value_kind:     hidden_remainder_y
      - .offset:         182
        .size:           2
        .value_kind:     hidden_remainder_z
      - .offset:         200
        .size:           8
        .value_kind:     hidden_global_offset_x
      - .offset:         208
        .size:           8
        .value_kind:     hidden_global_offset_y
      - .offset:         216
        .size:           8
        .value_kind:     hidden_global_offset_z
      - .offset:         224
        .size:           2
        .value_kind:     hidden_grid_dims
    .group_segment_fixed_size: 0
    .kernarg_segment_align: 8
    .kernarg_segment_size: 416
    .language:       OpenCL C
    .language_version:
      - 2
      - 0
    .max_flat_workgroup_size: 1024
    .name:           _ZL11k_bin_bcastIXadL_ZL6op_mulffEE6__halfffJPKfS2_EEvPKT0_PKT1_PT2_iii15HIP_vector_typeIjLj3EESC_SC_SC_SC_iiiiiiiiiiiDpT3_
    .private_segment_fixed_size: 0
    .sgpr_count:     46
    .sgpr_spill_count: 0
    .symbol:         _ZL11k_bin_bcastIXadL_ZL6op_mulffEE6__halfffJPKfS2_EEvPKT0_PKT1_PT2_iii15HIP_vector_typeIjLj3EESC_SC_SC_SC_iiiiiiiiiiiDpT3_.kd
    .uniform_work_group_size: 1
    .uses_dynamic_stack: false
    .vgpr_count:     17
    .vgpr_spill_count: 0
    .wavefront_size: 32
    .workgroup_processor_mode: 1
  - .args:
      - .address_space:  global
        .offset:         0
        .size:           8
        .value_kind:     global_buffer
      - .address_space:  global
        .offset:         8
        .size:           8
        .value_kind:     global_buffer
      - .address_space:  global
        .offset:         16
        .size:           8
        .value_kind:     global_buffer
      - .offset:         24
        .size:           12
        .value_kind:     by_value
      - .offset:         36
        .size:           12
        .value_kind:     by_value
      - .offset:         48
        .size:           12
        .value_kind:     by_value
      - .offset:         60
        .size:           4
        .value_kind:     by_value
      - .offset:         64
        .size:           12
        .value_kind:     by_value
      - .offset:         76
        .size:           12
        .value_kind:     by_value
      - .offset:         88
        .size:           12
        .value_kind:     by_value
      - .offset:         100
        .size:           12
        .value_kind:     by_value
      - .offset:         112
        .size:           12
        .value_kind:     by_value
      - .offset:         124
        .size:           12
        .value_kind:     by_value
      - .offset:         136
        .size:           4
        .value_kind:     by_value
      - .offset:         140
        .size:           4
        .value_kind:     by_value
      - .offset:         144
        .size:           4
        .value_kind:     by_value
      - .offset:         148
        .size:           4
        .value_kind:     by_value
      - .offset:         152
        .size:           4
        .value_kind:     by_value
      - .offset:         156
        .size:           4
        .value_kind:     by_value
      - .offset:         160
        .size:           4
        .value_kind:     by_value
      - .offset:         164
        .size:           4
        .value_kind:     by_value
      - .offset:         168
        .size:           4
        .value_kind:     by_value
      - .offset:         172
        .size:           4
        .value_kind:     by_value
      - .offset:         176
        .size:           4
        .value_kind:     by_value
      - .address_space:  global
        .offset:         184
        .size:           8
        .value_kind:     global_buffer
      - .address_space:  global
        .offset:         192
        .size:           8
        .value_kind:     global_buffer
      - .address_space:  global
        .offset:         200
        .size:           8
        .value_kind:     global_buffer
      - .offset:         208
        .size:           4
        .value_kind:     hidden_block_count_x
      - .offset:         212
        .size:           4
        .value_kind:     hidden_block_count_y
      - .offset:         216
        .size:           4
        .value_kind:     hidden_block_count_z
      - .offset:         220
        .size:           2
        .value_kind:     hidden_group_size_x
      - .offset:         222
        .size:           2
        .value_kind:     hidden_group_size_y
      - .offset:         224
        .size:           2
        .value_kind:     hidden_group_size_z
      - .offset:         226
        .size:           2
        .value_kind:     hidden_remainder_x
      - .offset:         228
        .size:           2
        .value_kind:     hidden_remainder_y
      - .offset:         230
        .size:           2
        .value_kind:     hidden_remainder_z
      - .offset:         248
        .size:           8
        .value_kind:     hidden_global_offset_x
      - .offset:         256
        .size:           8
        .value_kind:     hidden_global_offset_y
      - .offset:         264
        .size:           8
        .value_kind:     hidden_global_offset_z
      - .offset:         272
        .size:           2
        .value_kind:     hidden_grid_dims
    .group_segment_fixed_size: 0
    .kernarg_segment_align: 8
    .kernarg_segment_size: 464
    .language:       OpenCL C
    .language_version:
      - 2
      - 0
    .max_flat_workgroup_size: 1024
    .name:           _ZL19k_bin_bcast_unravelIXadL_ZL6op_mulffEEfffJPKfS1_S1_EEvPKT0_PKT1_PT2_15HIP_vector_typeIjLj3EESB_SB_jSB_SB_SB_SB_SB_SB_iiiiiiiiiiiDpT3_
    .private_segment_fixed_size: 0
    .sgpr_count:     30
    .sgpr_spill_count: 0
    .symbol:         _ZL19k_bin_bcast_unravelIXadL_ZL6op_mulffEEfffJPKfS1_S1_EEvPKT0_PKT1_PT2_15HIP_vector_typeIjLj3EESB_SB_jSB_SB_SB_SB_SB_SB_iiiiiiiiiiiDpT3_.kd
    .uniform_work_group_size: 1
    .uses_dynamic_stack: false
    .vgpr_count:     11
    .vgpr_spill_count: 0
    .wavefront_size: 32
    .workgroup_processor_mode: 1
  - .args:
      - .address_space:  global
        .offset:         0
        .size:           8
        .value_kind:     global_buffer
      - .address_space:  global
        .offset:         8
        .size:           8
        .value_kind:     global_buffer
      - .address_space:  global
        .offset:         16
        .size:           8
        .value_kind:     global_buffer
      - .offset:         24
        .size:           4
        .value_kind:     by_value
      - .offset:         28
        .size:           4
        .value_kind:     by_value
      - .offset:         32
        .size:           4
        .value_kind:     by_value
      - .offset:         36
        .size:           12
        .value_kind:     by_value
      - .offset:         48
        .size:           12
        .value_kind:     by_value
      - .offset:         60
        .size:           12
        .value_kind:     by_value
      - .offset:         72
        .size:           12
        .value_kind:     by_value
      - .offset:         84
        .size:           12
        .value_kind:     by_value
      - .offset:         96
        .size:           4
        .value_kind:     by_value
      - .offset:         100
        .size:           4
        .value_kind:     by_value
      - .offset:         104
        .size:           4
        .value_kind:     by_value
      - .offset:         108
        .size:           4
        .value_kind:     by_value
      - .offset:         112
        .size:           4
        .value_kind:     by_value
      - .offset:         116
        .size:           4
        .value_kind:     by_value
      - .offset:         120
        .size:           4
        .value_kind:     by_value
      - .offset:         124
        .size:           4
        .value_kind:     by_value
      - .offset:         128
        .size:           4
        .value_kind:     by_value
      - .offset:         132
        .size:           4
        .value_kind:     by_value
      - .offset:         136
        .size:           4
        .value_kind:     by_value
      - .address_space:  global
        .offset:         144
        .size:           8
        .value_kind:     global_buffer
      - .address_space:  global
        .offset:         152
        .size:           8
        .value_kind:     global_buffer
      - .address_space:  global
        .offset:         160
        .size:           8
        .value_kind:     global_buffer
      - .offset:         168
        .size:           4
        .value_kind:     hidden_block_count_x
      - .offset:         172
        .size:           4
        .value_kind:     hidden_block_count_y
      - .offset:         176
        .size:           4
        .value_kind:     hidden_block_count_z
      - .offset:         180
        .size:           2
        .value_kind:     hidden_group_size_x
      - .offset:         182
        .size:           2
        .value_kind:     hidden_group_size_y
      - .offset:         184
        .size:           2
        .value_kind:     hidden_group_size_z
      - .offset:         186
        .size:           2
        .value_kind:     hidden_remainder_x
      - .offset:         188
        .size:           2
        .value_kind:     hidden_remainder_y
      - .offset:         190
        .size:           2
        .value_kind:     hidden_remainder_z
      - .offset:         208
        .size:           8
        .value_kind:     hidden_global_offset_x
      - .offset:         216
        .size:           8
        .value_kind:     hidden_global_offset_y
      - .offset:         224
        .size:           8
        .value_kind:     hidden_global_offset_z
      - .offset:         232
        .size:           2
        .value_kind:     hidden_grid_dims
    .group_segment_fixed_size: 0
    .kernarg_segment_align: 8
    .kernarg_segment_size: 424
    .language:       OpenCL C
    .language_version:
      - 2
      - 0
    .max_flat_workgroup_size: 1024
    .name:           _ZL11k_bin_bcastIXadL_ZL6op_mulffEEfffJPKfS1_S1_EEvPKT0_PKT1_PT2_iii15HIP_vector_typeIjLj3EESB_SB_SB_SB_iiiiiiiiiiiDpT3_
    .private_segment_fixed_size: 0
    .sgpr_count:     46
    .sgpr_spill_count: 0
    .symbol:         _ZL11k_bin_bcastIXadL_ZL6op_mulffEEfffJPKfS1_S1_EEvPKT0_PKT1_PT2_iii15HIP_vector_typeIjLj3EESB_SB_SB_SB_iiiiiiiiiiiDpT3_.kd
    .uniform_work_group_size: 1
    .uses_dynamic_stack: false
    .vgpr_count:     17
    .vgpr_spill_count: 0
    .wavefront_size: 32
    .workgroup_processor_mode: 1
  - .args:
      - .address_space:  global
        .offset:         0
        .size:           8
        .value_kind:     global_buffer
      - .address_space:  global
        .offset:         8
        .size:           8
        .value_kind:     global_buffer
      - .address_space:  global
        .offset:         16
        .size:           8
        .value_kind:     global_buffer
      - .offset:         24
        .size:           12
        .value_kind:     by_value
      - .offset:         36
        .size:           12
        .value_kind:     by_value
      - .offset:         48
        .size:           12
        .value_kind:     by_value
      - .offset:         60
        .size:           4
        .value_kind:     by_value
      - .offset:         64
        .size:           12
        .value_kind:     by_value
      - .offset:         76
        .size:           12
        .value_kind:     by_value
      - .offset:         88
        .size:           12
        .value_kind:     by_value
      - .offset:         100
        .size:           12
        .value_kind:     by_value
      - .offset:         112
        .size:           12
        .value_kind:     by_value
      - .offset:         124
        .size:           12
        .value_kind:     by_value
      - .offset:         136
        .size:           4
        .value_kind:     by_value
      - .offset:         140
        .size:           4
        .value_kind:     by_value
      - .offset:         144
        .size:           4
        .value_kind:     by_value
      - .offset:         148
        .size:           4
        .value_kind:     by_value
      - .offset:         152
        .size:           4
        .value_kind:     by_value
      - .offset:         156
        .size:           4
        .value_kind:     by_value
      - .offset:         160
        .size:           4
        .value_kind:     by_value
      - .offset:         164
        .size:           4
        .value_kind:     by_value
      - .offset:         168
        .size:           4
        .value_kind:     by_value
      - .offset:         172
        .size:           4
        .value_kind:     by_value
      - .offset:         176
        .size:           4
        .value_kind:     by_value
      - .address_space:  global
        .offset:         184
        .size:           8
        .value_kind:     global_buffer
      - .address_space:  global
        .offset:         192
        .size:           8
        .value_kind:     global_buffer
      - .address_space:  global
        .offset:         200
        .size:           8
        .value_kind:     global_buffer
      - .offset:         208
        .size:           4
        .value_kind:     hidden_block_count_x
      - .offset:         212
        .size:           4
        .value_kind:     hidden_block_count_y
      - .offset:         216
        .size:           4
        .value_kind:     hidden_block_count_z
      - .offset:         220
        .size:           2
        .value_kind:     hidden_group_size_x
      - .offset:         222
        .size:           2
        .value_kind:     hidden_group_size_y
      - .offset:         224
        .size:           2
        .value_kind:     hidden_group_size_z
      - .offset:         226
        .size:           2
        .value_kind:     hidden_remainder_x
      - .offset:         228
        .size:           2
        .value_kind:     hidden_remainder_y
      - .offset:         230
        .size:           2
        .value_kind:     hidden_remainder_z
      - .offset:         248
        .size:           8
        .value_kind:     hidden_global_offset_x
      - .offset:         256
        .size:           8
        .value_kind:     hidden_global_offset_y
      - .offset:         264
        .size:           8
        .value_kind:     hidden_global_offset_z
      - .offset:         272
        .size:           2
        .value_kind:     hidden_grid_dims
    .group_segment_fixed_size: 0
    .kernarg_segment_align: 8
    .kernarg_segment_size: 464
    .language:       OpenCL C
    .language_version:
      - 2
      - 0
    .max_flat_workgroup_size: 1024
    .name:           _ZL19k_bin_bcast_unravelIXadL_ZL6op_mulffEE6__halfS0_S0_JPKS0_S2_S2_EEvPKT0_PKT1_PT2_15HIP_vector_typeIjLj3EESC_SC_jSC_SC_SC_SC_SC_SC_iiiiiiiiiiiDpT3_
    .private_segment_fixed_size: 0
    .sgpr_count:     30
    .sgpr_spill_count: 0
    .symbol:         _ZL19k_bin_bcast_unravelIXadL_ZL6op_mulffEE6__halfS0_S0_JPKS0_S2_S2_EEvPKT0_PKT1_PT2_15HIP_vector_typeIjLj3EESC_SC_jSC_SC_SC_SC_SC_SC_iiiiiiiiiiiDpT3_.kd
    .uniform_work_group_size: 1
    .uses_dynamic_stack: false
    .vgpr_count:     11
    .vgpr_spill_count: 0
    .wavefront_size: 32
    .workgroup_processor_mode: 1
  - .args:
      - .address_space:  global
        .offset:         0
        .size:           8
        .value_kind:     global_buffer
      - .address_space:  global
        .offset:         8
        .size:           8
        .value_kind:     global_buffer
      - .address_space:  global
        .offset:         16
        .size:           8
        .value_kind:     global_buffer
      - .offset:         24
        .size:           4
        .value_kind:     by_value
      - .offset:         28
        .size:           4
        .value_kind:     by_value
      - .offset:         32
        .size:           4
        .value_kind:     by_value
      - .offset:         36
        .size:           12
        .value_kind:     by_value
      - .offset:         48
        .size:           12
        .value_kind:     by_value
      - .offset:         60
        .size:           12
        .value_kind:     by_value
      - .offset:         72
        .size:           12
        .value_kind:     by_value
      - .offset:         84
        .size:           12
        .value_kind:     by_value
      - .offset:         96
        .size:           4
        .value_kind:     by_value
      - .offset:         100
        .size:           4
        .value_kind:     by_value
      - .offset:         104
        .size:           4
        .value_kind:     by_value
      - .offset:         108
        .size:           4
        .value_kind:     by_value
      - .offset:         112
        .size:           4
        .value_kind:     by_value
      - .offset:         116
        .size:           4
        .value_kind:     by_value
      - .offset:         120
        .size:           4
        .value_kind:     by_value
      - .offset:         124
        .size:           4
        .value_kind:     by_value
      - .offset:         128
        .size:           4
        .value_kind:     by_value
      - .offset:         132
        .size:           4
        .value_kind:     by_value
      - .offset:         136
        .size:           4
        .value_kind:     by_value
      - .address_space:  global
        .offset:         144
        .size:           8
        .value_kind:     global_buffer
      - .address_space:  global
        .offset:         152
        .size:           8
        .value_kind:     global_buffer
      - .address_space:  global
        .offset:         160
        .size:           8
        .value_kind:     global_buffer
      - .offset:         168
        .size:           4
        .value_kind:     hidden_block_count_x
      - .offset:         172
        .size:           4
        .value_kind:     hidden_block_count_y
      - .offset:         176
        .size:           4
        .value_kind:     hidden_block_count_z
      - .offset:         180
        .size:           2
        .value_kind:     hidden_group_size_x
      - .offset:         182
        .size:           2
        .value_kind:     hidden_group_size_y
      - .offset:         184
        .size:           2
        .value_kind:     hidden_group_size_z
      - .offset:         186
        .size:           2
        .value_kind:     hidden_remainder_x
      - .offset:         188
        .size:           2
        .value_kind:     hidden_remainder_y
      - .offset:         190
        .size:           2
        .value_kind:     hidden_remainder_z
      - .offset:         208
        .size:           8
        .value_kind:     hidden_global_offset_x
      - .offset:         216
        .size:           8
        .value_kind:     hidden_global_offset_y
      - .offset:         224
        .size:           8
        .value_kind:     hidden_global_offset_z
      - .offset:         232
        .size:           2
        .value_kind:     hidden_grid_dims
    .group_segment_fixed_size: 0
    .kernarg_segment_align: 8
    .kernarg_segment_size: 424
    .language:       OpenCL C
    .language_version:
      - 2
      - 0
    .max_flat_workgroup_size: 1024
    .name:           _ZL11k_bin_bcastIXadL_ZL6op_mulffEE6__halfS0_S0_JPKS0_S2_S2_EEvPKT0_PKT1_PT2_iii15HIP_vector_typeIjLj3EESC_SC_SC_SC_iiiiiiiiiiiDpT3_
    .private_segment_fixed_size: 0
    .sgpr_count:     46
    .sgpr_spill_count: 0
    .symbol:         _ZL11k_bin_bcastIXadL_ZL6op_mulffEE6__halfS0_S0_JPKS0_S2_S2_EEvPKT0_PKT1_PT2_iii15HIP_vector_typeIjLj3EESC_SC_SC_SC_iiiiiiiiiiiDpT3_.kd
    .uniform_work_group_size: 1
    .uses_dynamic_stack: false
    .vgpr_count:     17
    .vgpr_spill_count: 0
    .wavefront_size: 32
    .workgroup_processor_mode: 1
  - .args:
      - .address_space:  global
        .offset:         0
        .size:           8
        .value_kind:     global_buffer
      - .address_space:  global
        .offset:         8
        .size:           8
        .value_kind:     global_buffer
      - .address_space:  global
        .offset:         16
        .size:           8
        .value_kind:     global_buffer
      - .offset:         24
        .size:           12
        .value_kind:     by_value
      - .offset:         36
        .size:           12
        .value_kind:     by_value
      - .offset:         48
        .size:           12
        .value_kind:     by_value
      - .offset:         60
        .size:           4
        .value_kind:     by_value
      - .offset:         64
        .size:           12
        .value_kind:     by_value
      - .offset:         76
        .size:           12
        .value_kind:     by_value
      - .offset:         88
        .size:           12
        .value_kind:     by_value
      - .offset:         100
        .size:           12
        .value_kind:     by_value
      - .offset:         112
        .size:           12
        .value_kind:     by_value
      - .offset:         124
        .size:           12
        .value_kind:     by_value
      - .offset:         136
        .size:           4
        .value_kind:     by_value
      - .offset:         140
        .size:           4
        .value_kind:     by_value
      - .offset:         144
        .size:           4
        .value_kind:     by_value
      - .offset:         148
        .size:           4
        .value_kind:     by_value
      - .offset:         152
        .size:           4
        .value_kind:     by_value
      - .offset:         156
        .size:           4
        .value_kind:     by_value
      - .offset:         160
        .size:           4
        .value_kind:     by_value
      - .offset:         164
        .size:           4
        .value_kind:     by_value
      - .offset:         168
        .size:           4
        .value_kind:     by_value
      - .offset:         172
        .size:           4
        .value_kind:     by_value
      - .offset:         176
        .size:           4
        .value_kind:     by_value
      - .address_space:  global
        .offset:         184
        .size:           8
        .value_kind:     global_buffer
      - .address_space:  global
        .offset:         192
        .size:           8
        .value_kind:     global_buffer
      - .address_space:  global
        .offset:         200
        .size:           8
        .value_kind:     global_buffer
      - .offset:         208
        .size:           4
        .value_kind:     hidden_block_count_x
      - .offset:         212
        .size:           4
        .value_kind:     hidden_block_count_y
      - .offset:         216
        .size:           4
        .value_kind:     hidden_block_count_z
      - .offset:         220
        .size:           2
        .value_kind:     hidden_group_size_x
      - .offset:         222
        .size:           2
        .value_kind:     hidden_group_size_y
      - .offset:         224
        .size:           2
        .value_kind:     hidden_group_size_z
      - .offset:         226
        .size:           2
        .value_kind:     hidden_remainder_x
      - .offset:         228
        .size:           2
        .value_kind:     hidden_remainder_y
      - .offset:         230
        .size:           2
        .value_kind:     hidden_remainder_z
      - .offset:         248
        .size:           8
        .value_kind:     hidden_global_offset_x
      - .offset:         256
        .size:           8
        .value_kind:     hidden_global_offset_y
      - .offset:         264
        .size:           8
        .value_kind:     hidden_global_offset_z
      - .offset:         272
        .size:           2
        .value_kind:     hidden_grid_dims
    .group_segment_fixed_size: 0
    .kernarg_segment_align: 8
    .kernarg_segment_size: 464
    .language:       OpenCL C
    .language_version:
      - 2
      - 0
    .max_flat_workgroup_size: 1024
    .name:           _ZL19k_bin_bcast_unravelIXadL_ZL6op_mulffEE6__halffS0_JPKfS2_S2_EEvPKT0_PKT1_PT2_15HIP_vector_typeIjLj3EESC_SC_jSC_SC_SC_SC_SC_SC_iiiiiiiiiiiDpT3_
    .private_segment_fixed_size: 0
    .sgpr_count:     30
    .sgpr_spill_count: 0
    .symbol:         _ZL19k_bin_bcast_unravelIXadL_ZL6op_mulffEE6__halffS0_JPKfS2_S2_EEvPKT0_PKT1_PT2_15HIP_vector_typeIjLj3EESC_SC_jSC_SC_SC_SC_SC_SC_iiiiiiiiiiiDpT3_.kd
    .uniform_work_group_size: 1
    .uses_dynamic_stack: false
    .vgpr_count:     11
    .vgpr_spill_count: 0
    .wavefront_size: 32
    .workgroup_processor_mode: 1
  - .args:
      - .address_space:  global
        .offset:         0
        .size:           8
        .value_kind:     global_buffer
      - .address_space:  global
        .offset:         8
        .size:           8
        .value_kind:     global_buffer
      - .address_space:  global
        .offset:         16
        .size:           8
        .value_kind:     global_buffer
      - .offset:         24
        .size:           4
        .value_kind:     by_value
      - .offset:         28
        .size:           4
        .value_kind:     by_value
      - .offset:         32
        .size:           4
        .value_kind:     by_value
      - .offset:         36
        .size:           12
        .value_kind:     by_value
      - .offset:         48
        .size:           12
        .value_kind:     by_value
      - .offset:         60
        .size:           12
        .value_kind:     by_value
      - .offset:         72
        .size:           12
        .value_kind:     by_value
      - .offset:         84
        .size:           12
        .value_kind:     by_value
      - .offset:         96
        .size:           4
        .value_kind:     by_value
      - .offset:         100
        .size:           4
        .value_kind:     by_value
      - .offset:         104
        .size:           4
        .value_kind:     by_value
      - .offset:         108
        .size:           4
        .value_kind:     by_value
      - .offset:         112
        .size:           4
        .value_kind:     by_value
      - .offset:         116
        .size:           4
        .value_kind:     by_value
      - .offset:         120
        .size:           4
        .value_kind:     by_value
      - .offset:         124
        .size:           4
        .value_kind:     by_value
      - .offset:         128
        .size:           4
        .value_kind:     by_value
      - .offset:         132
        .size:           4
        .value_kind:     by_value
      - .offset:         136
        .size:           4
        .value_kind:     by_value
      - .address_space:  global
        .offset:         144
        .size:           8
        .value_kind:     global_buffer
      - .address_space:  global
        .offset:         152
        .size:           8
        .value_kind:     global_buffer
      - .address_space:  global
        .offset:         160
        .size:           8
        .value_kind:     global_buffer
      - .offset:         168
        .size:           4
        .value_kind:     hidden_block_count_x
      - .offset:         172
        .size:           4
        .value_kind:     hidden_block_count_y
      - .offset:         176
        .size:           4
        .value_kind:     hidden_block_count_z
      - .offset:         180
        .size:           2
        .value_kind:     hidden_group_size_x
      - .offset:         182
        .size:           2
        .value_kind:     hidden_group_size_y
      - .offset:         184
        .size:           2
        .value_kind:     hidden_group_size_z
      - .offset:         186
        .size:           2
        .value_kind:     hidden_remainder_x
      - .offset:         188
        .size:           2
        .value_kind:     hidden_remainder_y
      - .offset:         190
        .size:           2
        .value_kind:     hidden_remainder_z
      - .offset:         208
        .size:           8
        .value_kind:     hidden_global_offset_x
      - .offset:         216
        .size:           8
        .value_kind:     hidden_global_offset_y
      - .offset:         224
        .size:           8
        .value_kind:     hidden_global_offset_z
      - .offset:         232
        .size:           2
        .value_kind:     hidden_grid_dims
    .group_segment_fixed_size: 0
    .kernarg_segment_align: 8
    .kernarg_segment_size: 424
    .language:       OpenCL C
    .language_version:
      - 2
      - 0
    .max_flat_workgroup_size: 1024
    .name:           _ZL11k_bin_bcastIXadL_ZL6op_mulffEE6__halffS0_JPKfS2_S2_EEvPKT0_PKT1_PT2_iii15HIP_vector_typeIjLj3EESC_SC_SC_SC_iiiiiiiiiiiDpT3_
    .private_segment_fixed_size: 0
    .sgpr_count:     46
    .sgpr_spill_count: 0
    .symbol:         _ZL11k_bin_bcastIXadL_ZL6op_mulffEE6__halffS0_JPKfS2_S2_EEvPKT0_PKT1_PT2_iii15HIP_vector_typeIjLj3EESC_SC_SC_SC_iiiiiiiiiiiDpT3_.kd
    .uniform_work_group_size: 1
    .uses_dynamic_stack: false
    .vgpr_count:     17
    .vgpr_spill_count: 0
    .wavefront_size: 32
    .workgroup_processor_mode: 1
  - .args:
      - .address_space:  global
        .offset:         0
        .size:           8
        .value_kind:     global_buffer
      - .address_space:  global
        .offset:         8
        .size:           8
        .value_kind:     global_buffer
      - .address_space:  global
        .offset:         16
        .size:           8
        .value_kind:     global_buffer
      - .offset:         24
        .size:           12
        .value_kind:     by_value
      - .offset:         36
        .size:           12
        .value_kind:     by_value
      - .offset:         48
        .size:           12
        .value_kind:     by_value
      - .offset:         60
        .size:           4
        .value_kind:     by_value
      - .offset:         64
        .size:           12
        .value_kind:     by_value
      - .offset:         76
        .size:           12
        .value_kind:     by_value
      - .offset:         88
        .size:           12
        .value_kind:     by_value
      - .offset:         100
        .size:           12
        .value_kind:     by_value
      - .offset:         112
        .size:           12
        .value_kind:     by_value
      - .offset:         124
        .size:           12
        .value_kind:     by_value
      - .offset:         136
        .size:           4
        .value_kind:     by_value
      - .offset:         140
        .size:           4
        .value_kind:     by_value
      - .offset:         144
        .size:           4
        .value_kind:     by_value
      - .offset:         148
        .size:           4
        .value_kind:     by_value
      - .offset:         152
        .size:           4
        .value_kind:     by_value
      - .offset:         156
        .size:           4
        .value_kind:     by_value
      - .offset:         160
        .size:           4
        .value_kind:     by_value
      - .offset:         164
        .size:           4
        .value_kind:     by_value
      - .offset:         168
        .size:           4
        .value_kind:     by_value
      - .offset:         172
        .size:           4
        .value_kind:     by_value
      - .offset:         176
        .size:           4
        .value_kind:     by_value
      - .address_space:  global
        .offset:         184
        .size:           8
        .value_kind:     global_buffer
      - .address_space:  global
        .offset:         192
        .size:           8
        .value_kind:     global_buffer
      - .address_space:  global
        .offset:         200
        .size:           8
        .value_kind:     global_buffer
      - .offset:         208
        .size:           4
        .value_kind:     hidden_block_count_x
      - .offset:         212
        .size:           4
        .value_kind:     hidden_block_count_y
      - .offset:         216
        .size:           4
        .value_kind:     hidden_block_count_z
      - .offset:         220
        .size:           2
        .value_kind:     hidden_group_size_x
      - .offset:         222
        .size:           2
        .value_kind:     hidden_group_size_y
      - .offset:         224
        .size:           2
        .value_kind:     hidden_group_size_z
      - .offset:         226
        .size:           2
        .value_kind:     hidden_remainder_x
      - .offset:         228
        .size:           2
        .value_kind:     hidden_remainder_y
      - .offset:         230
        .size:           2
        .value_kind:     hidden_remainder_z
      - .offset:         248
        .size:           8
        .value_kind:     hidden_global_offset_x
      - .offset:         256
        .size:           8
        .value_kind:     hidden_global_offset_y
      - .offset:         264
        .size:           8
        .value_kind:     hidden_global_offset_z
      - .offset:         272
        .size:           2
        .value_kind:     hidden_grid_dims
    .group_segment_fixed_size: 0
    .kernarg_segment_align: 8
    .kernarg_segment_size: 464
    .language:       OpenCL C
    .language_version:
      - 2
      - 0
    .max_flat_workgroup_size: 1024
    .name:           _ZL19k_bin_bcast_unravelIXadL_ZL6op_mulffEE6__halfffJPKfS2_S2_EEvPKT0_PKT1_PT2_15HIP_vector_typeIjLj3EESC_SC_jSC_SC_SC_SC_SC_SC_iiiiiiiiiiiDpT3_
    .private_segment_fixed_size: 0
    .sgpr_count:     30
    .sgpr_spill_count: 0
    .symbol:         _ZL19k_bin_bcast_unravelIXadL_ZL6op_mulffEE6__halfffJPKfS2_S2_EEvPKT0_PKT1_PT2_15HIP_vector_typeIjLj3EESC_SC_jSC_SC_SC_SC_SC_SC_iiiiiiiiiiiDpT3_.kd
    .uniform_work_group_size: 1
    .uses_dynamic_stack: false
    .vgpr_count:     11
    .vgpr_spill_count: 0
    .wavefront_size: 32
    .workgroup_processor_mode: 1
  - .args:
      - .address_space:  global
        .offset:         0
        .size:           8
        .value_kind:     global_buffer
      - .address_space:  global
        .offset:         8
        .size:           8
        .value_kind:     global_buffer
      - .address_space:  global
        .offset:         16
        .size:           8
        .value_kind:     global_buffer
      - .offset:         24
        .size:           4
        .value_kind:     by_value
      - .offset:         28
        .size:           4
        .value_kind:     by_value
      - .offset:         32
        .size:           4
        .value_kind:     by_value
      - .offset:         36
        .size:           12
        .value_kind:     by_value
      - .offset:         48
        .size:           12
        .value_kind:     by_value
      - .offset:         60
        .size:           12
        .value_kind:     by_value
      - .offset:         72
        .size:           12
        .value_kind:     by_value
      - .offset:         84
        .size:           12
        .value_kind:     by_value
      - .offset:         96
        .size:           4
        .value_kind:     by_value
      - .offset:         100
        .size:           4
        .value_kind:     by_value
      - .offset:         104
        .size:           4
        .value_kind:     by_value
      - .offset:         108
        .size:           4
        .value_kind:     by_value
      - .offset:         112
        .size:           4
        .value_kind:     by_value
      - .offset:         116
        .size:           4
        .value_kind:     by_value
      - .offset:         120
        .size:           4
        .value_kind:     by_value
      - .offset:         124
        .size:           4
        .value_kind:     by_value
      - .offset:         128
        .size:           4
        .value_kind:     by_value
      - .offset:         132
        .size:           4
        .value_kind:     by_value
      - .offset:         136
        .size:           4
        .value_kind:     by_value
      - .address_space:  global
        .offset:         144
        .size:           8
        .value_kind:     global_buffer
      - .address_space:  global
        .offset:         152
        .size:           8
        .value_kind:     global_buffer
      - .address_space:  global
        .offset:         160
        .size:           8
        .value_kind:     global_buffer
      - .offset:         168
        .size:           4
        .value_kind:     hidden_block_count_x
      - .offset:         172
        .size:           4
        .value_kind:     hidden_block_count_y
      - .offset:         176
        .size:           4
        .value_kind:     hidden_block_count_z
      - .offset:         180
        .size:           2
        .value_kind:     hidden_group_size_x
      - .offset:         182
        .size:           2
        .value_kind:     hidden_group_size_y
      - .offset:         184
        .size:           2
        .value_kind:     hidden_group_size_z
      - .offset:         186
        .size:           2
        .value_kind:     hidden_remainder_x
      - .offset:         188
        .size:           2
        .value_kind:     hidden_remainder_y
      - .offset:         190
        .size:           2
        .value_kind:     hidden_remainder_z
      - .offset:         208
        .size:           8
        .value_kind:     hidden_global_offset_x
      - .offset:         216
        .size:           8
        .value_kind:     hidden_global_offset_y
      - .offset:         224
        .size:           8
        .value_kind:     hidden_global_offset_z
      - .offset:         232
        .size:           2
        .value_kind:     hidden_grid_dims
    .group_segment_fixed_size: 0
    .kernarg_segment_align: 8
    .kernarg_segment_size: 424
    .language:       OpenCL C
    .language_version:
      - 2
      - 0
    .max_flat_workgroup_size: 1024
    .name:           _ZL11k_bin_bcastIXadL_ZL6op_mulffEE6__halfffJPKfS2_S2_EEvPKT0_PKT1_PT2_iii15HIP_vector_typeIjLj3EESC_SC_SC_SC_iiiiiiiiiiiDpT3_
    .private_segment_fixed_size: 0
    .sgpr_count:     46
    .sgpr_spill_count: 0
    .symbol:         _ZL11k_bin_bcastIXadL_ZL6op_mulffEE6__halfffJPKfS2_S2_EEvPKT0_PKT1_PT2_iii15HIP_vector_typeIjLj3EESC_SC_SC_SC_iiiiiiiiiiiDpT3_.kd
    .uniform_work_group_size: 1
    .uses_dynamic_stack: false
    .vgpr_count:     17
    .vgpr_spill_count: 0
    .wavefront_size: 32
    .workgroup_processor_mode: 1
  - .args:
      - .address_space:  global
        .offset:         0
        .size:           8
        .value_kind:     global_buffer
      - .address_space:  global
        .offset:         8
        .size:           8
        .value_kind:     global_buffer
      - .address_space:  global
        .offset:         16
        .size:           8
        .value_kind:     global_buffer
      - .offset:         24
        .size:           12
        .value_kind:     by_value
      - .offset:         36
        .size:           12
        .value_kind:     by_value
      - .offset:         48
        .size:           12
        .value_kind:     by_value
      - .offset:         60
        .size:           4
        .value_kind:     by_value
      - .offset:         64
        .size:           12
        .value_kind:     by_value
      - .offset:         76
        .size:           12
        .value_kind:     by_value
      - .offset:         88
        .size:           12
        .value_kind:     by_value
      - .offset:         100
        .size:           12
        .value_kind:     by_value
      - .offset:         112
        .size:           12
        .value_kind:     by_value
      - .offset:         124
        .size:           12
        .value_kind:     by_value
      - .offset:         136
        .size:           4
        .value_kind:     by_value
      - .offset:         140
        .size:           4
        .value_kind:     by_value
      - .offset:         144
        .size:           4
        .value_kind:     by_value
      - .offset:         148
        .size:           4
        .value_kind:     by_value
      - .offset:         152
        .size:           4
        .value_kind:     by_value
      - .offset:         156
        .size:           4
        .value_kind:     by_value
      - .offset:         160
        .size:           4
        .value_kind:     by_value
      - .offset:         164
        .size:           4
        .value_kind:     by_value
      - .offset:         168
        .size:           4
        .value_kind:     by_value
      - .offset:         172
        .size:           4
        .value_kind:     by_value
      - .offset:         176
        .size:           4
        .value_kind:     by_value
      - .address_space:  global
        .offset:         184
        .size:           8
        .value_kind:     global_buffer
      - .address_space:  global
        .offset:         192
        .size:           8
        .value_kind:     global_buffer
      - .address_space:  global
        .offset:         200
        .size:           8
        .value_kind:     global_buffer
      - .address_space:  global
        .offset:         208
        .size:           8
        .value_kind:     global_buffer
      - .offset:         216
        .size:           4
        .value_kind:     hidden_block_count_x
      - .offset:         220
        .size:           4
        .value_kind:     hidden_block_count_y
      - .offset:         224
        .size:           4
        .value_kind:     hidden_block_count_z
      - .offset:         228
        .size:           2
        .value_kind:     hidden_group_size_x
      - .offset:         230
        .size:           2
        .value_kind:     hidden_group_size_y
      - .offset:         232
        .size:           2
        .value_kind:     hidden_group_size_z
      - .offset:         234
        .size:           2
        .value_kind:     hidden_remainder_x
      - .offset:         236
        .size:           2
        .value_kind:     hidden_remainder_y
      - .offset:         238
        .size:           2
        .value_kind:     hidden_remainder_z
      - .offset:         256
        .size:           8
        .value_kind:     hidden_global_offset_x
      - .offset:         264
        .size:           8
        .value_kind:     hidden_global_offset_y
      - .offset:         272
        .size:           8
        .value_kind:     hidden_global_offset_z
      - .offset:         280
        .size:           2
        .value_kind:     hidden_grid_dims
    .group_segment_fixed_size: 0
    .kernarg_segment_align: 8
    .kernarg_segment_size: 472
    .language:       OpenCL C
    .language_version:
      - 2
      - 0
    .max_flat_workgroup_size: 1024
    .name:           _ZL19k_bin_bcast_unravelIXadL_ZL6op_mulffEEfffJPKfS1_S1_S1_EEvPKT0_PKT1_PT2_15HIP_vector_typeIjLj3EESB_SB_jSB_SB_SB_SB_SB_SB_iiiiiiiiiiiDpT3_
    .private_segment_fixed_size: 0
    .sgpr_count:     30
    .sgpr_spill_count: 0
    .symbol:         _ZL19k_bin_bcast_unravelIXadL_ZL6op_mulffEEfffJPKfS1_S1_S1_EEvPKT0_PKT1_PT2_15HIP_vector_typeIjLj3EESB_SB_jSB_SB_SB_SB_SB_SB_iiiiiiiiiiiDpT3_.kd
    .uniform_work_group_size: 1
    .uses_dynamic_stack: false
    .vgpr_count:     12
    .vgpr_spill_count: 0
    .wavefront_size: 32
    .workgroup_processor_mode: 1
  - .args:
      - .address_space:  global
        .offset:         0
        .size:           8
        .value_kind:     global_buffer
      - .address_space:  global
        .offset:         8
        .size:           8
        .value_kind:     global_buffer
      - .address_space:  global
        .offset:         16
        .size:           8
        .value_kind:     global_buffer
      - .offset:         24
        .size:           4
        .value_kind:     by_value
      - .offset:         28
        .size:           4
        .value_kind:     by_value
      - .offset:         32
        .size:           4
        .value_kind:     by_value
      - .offset:         36
        .size:           12
        .value_kind:     by_value
      - .offset:         48
        .size:           12
        .value_kind:     by_value
      - .offset:         60
        .size:           12
        .value_kind:     by_value
      - .offset:         72
        .size:           12
        .value_kind:     by_value
      - .offset:         84
        .size:           12
        .value_kind:     by_value
      - .offset:         96
        .size:           4
        .value_kind:     by_value
      - .offset:         100
        .size:           4
        .value_kind:     by_value
      - .offset:         104
        .size:           4
        .value_kind:     by_value
      - .offset:         108
        .size:           4
        .value_kind:     by_value
      - .offset:         112
        .size:           4
        .value_kind:     by_value
      - .offset:         116
        .size:           4
        .value_kind:     by_value
      - .offset:         120
        .size:           4
        .value_kind:     by_value
      - .offset:         124
        .size:           4
        .value_kind:     by_value
      - .offset:         128
        .size:           4
        .value_kind:     by_value
      - .offset:         132
        .size:           4
        .value_kind:     by_value
      - .offset:         136
        .size:           4
        .value_kind:     by_value
      - .address_space:  global
        .offset:         144
        .size:           8
        .value_kind:     global_buffer
      - .address_space:  global
        .offset:         152
        .size:           8
        .value_kind:     global_buffer
      - .address_space:  global
        .offset:         160
        .size:           8
        .value_kind:     global_buffer
      - .address_space:  global
        .offset:         168
        .size:           8
        .value_kind:     global_buffer
      - .offset:         176
        .size:           4
        .value_kind:     hidden_block_count_x
      - .offset:         180
        .size:           4
        .value_kind:     hidden_block_count_y
      - .offset:         184
        .size:           4
        .value_kind:     hidden_block_count_z
      - .offset:         188
        .size:           2
        .value_kind:     hidden_group_size_x
      - .offset:         190
        .size:           2
        .value_kind:     hidden_group_size_y
      - .offset:         192
        .size:           2
        .value_kind:     hidden_group_size_z
      - .offset:         194
        .size:           2
        .value_kind:     hidden_remainder_x
      - .offset:         196
        .size:           2
        .value_kind:     hidden_remainder_y
      - .offset:         198
        .size:           2
        .value_kind:     hidden_remainder_z
      - .offset:         216
        .size:           8
        .value_kind:     hidden_global_offset_x
      - .offset:         224
        .size:           8
        .value_kind:     hidden_global_offset_y
      - .offset:         232
        .size:           8
        .value_kind:     hidden_global_offset_z
      - .offset:         240
        .size:           2
        .value_kind:     hidden_grid_dims
    .group_segment_fixed_size: 0
    .kernarg_segment_align: 8
    .kernarg_segment_size: 432
    .language:       OpenCL C
    .language_version:
      - 2
      - 0
    .max_flat_workgroup_size: 1024
    .name:           _ZL11k_bin_bcastIXadL_ZL6op_mulffEEfffJPKfS1_S1_S1_EEvPKT0_PKT1_PT2_iii15HIP_vector_typeIjLj3EESB_SB_SB_SB_iiiiiiiiiiiDpT3_
    .private_segment_fixed_size: 0
    .sgpr_count:     38
    .sgpr_spill_count: 0
    .symbol:         _ZL11k_bin_bcastIXadL_ZL6op_mulffEEfffJPKfS1_S1_S1_EEvPKT0_PKT1_PT2_iii15HIP_vector_typeIjLj3EESB_SB_SB_SB_iiiiiiiiiiiDpT3_.kd
    .uniform_work_group_size: 1
    .uses_dynamic_stack: false
    .vgpr_count:     17
    .vgpr_spill_count: 0
    .wavefront_size: 32
    .workgroup_processor_mode: 1
  - .args:
      - .address_space:  global
        .offset:         0
        .size:           8
        .value_kind:     global_buffer
      - .address_space:  global
        .offset:         8
        .size:           8
        .value_kind:     global_buffer
      - .address_space:  global
        .offset:         16
        .size:           8
        .value_kind:     global_buffer
      - .offset:         24
        .size:           12
        .value_kind:     by_value
      - .offset:         36
        .size:           12
        .value_kind:     by_value
      - .offset:         48
        .size:           12
        .value_kind:     by_value
      - .offset:         60
        .size:           4
        .value_kind:     by_value
      - .offset:         64
        .size:           12
        .value_kind:     by_value
      - .offset:         76
        .size:           12
        .value_kind:     by_value
      - .offset:         88
        .size:           12
        .value_kind:     by_value
      - .offset:         100
        .size:           12
        .value_kind:     by_value
      - .offset:         112
        .size:           12
        .value_kind:     by_value
      - .offset:         124
        .size:           12
        .value_kind:     by_value
      - .offset:         136
        .size:           4
        .value_kind:     by_value
      - .offset:         140
        .size:           4
        .value_kind:     by_value
      - .offset:         144
        .size:           4
        .value_kind:     by_value
      - .offset:         148
        .size:           4
        .value_kind:     by_value
      - .offset:         152
        .size:           4
        .value_kind:     by_value
      - .offset:         156
        .size:           4
        .value_kind:     by_value
      - .offset:         160
        .size:           4
        .value_kind:     by_value
      - .offset:         164
        .size:           4
        .value_kind:     by_value
      - .offset:         168
        .size:           4
        .value_kind:     by_value
      - .offset:         172
        .size:           4
        .value_kind:     by_value
      - .offset:         176
        .size:           4
        .value_kind:     by_value
      - .address_space:  global
        .offset:         184
        .size:           8
        .value_kind:     global_buffer
      - .address_space:  global
        .offset:         192
        .size:           8
        .value_kind:     global_buffer
      - .address_space:  global
        .offset:         200
        .size:           8
        .value_kind:     global_buffer
      - .address_space:  global
        .offset:         208
        .size:           8
        .value_kind:     global_buffer
      - .offset:         216
        .size:           4
        .value_kind:     hidden_block_count_x
      - .offset:         220
        .size:           4
        .value_kind:     hidden_block_count_y
      - .offset:         224
        .size:           4
        .value_kind:     hidden_block_count_z
      - .offset:         228
        .size:           2
        .value_kind:     hidden_group_size_x
      - .offset:         230
        .size:           2
        .value_kind:     hidden_group_size_y
      - .offset:         232
        .size:           2
        .value_kind:     hidden_group_size_z
      - .offset:         234
        .size:           2
        .value_kind:     hidden_remainder_x
      - .offset:         236
        .size:           2
        .value_kind:     hidden_remainder_y
      - .offset:         238
        .size:           2
        .value_kind:     hidden_remainder_z
      - .offset:         256
        .size:           8
        .value_kind:     hidden_global_offset_x
      - .offset:         264
        .size:           8
        .value_kind:     hidden_global_offset_y
      - .offset:         272
        .size:           8
        .value_kind:     hidden_global_offset_z
      - .offset:         280
        .size:           2
        .value_kind:     hidden_grid_dims
    .group_segment_fixed_size: 0
    .kernarg_segment_align: 8
    .kernarg_segment_size: 472
    .language:       OpenCL C
    .language_version:
      - 2
      - 0
    .max_flat_workgroup_size: 1024
    .name:           _ZL19k_bin_bcast_unravelIXadL_ZL6op_mulffEE6__halfS0_S0_JPKS0_S2_S2_S2_EEvPKT0_PKT1_PT2_15HIP_vector_typeIjLj3EESC_SC_jSC_SC_SC_SC_SC_SC_iiiiiiiiiiiDpT3_
    .private_segment_fixed_size: 0
    .sgpr_count:     30
    .sgpr_spill_count: 0
    .symbol:         _ZL19k_bin_bcast_unravelIXadL_ZL6op_mulffEE6__halfS0_S0_JPKS0_S2_S2_S2_EEvPKT0_PKT1_PT2_15HIP_vector_typeIjLj3EESC_SC_jSC_SC_SC_SC_SC_SC_iiiiiiiiiiiDpT3_.kd
    .uniform_work_group_size: 1
    .uses_dynamic_stack: false
    .vgpr_count:     12
    .vgpr_spill_count: 0
    .wavefront_size: 32
    .workgroup_processor_mode: 1
  - .args:
      - .address_space:  global
        .offset:         0
        .size:           8
        .value_kind:     global_buffer
      - .address_space:  global
        .offset:         8
        .size:           8
        .value_kind:     global_buffer
      - .address_space:  global
        .offset:         16
        .size:           8
        .value_kind:     global_buffer
      - .offset:         24
        .size:           4
        .value_kind:     by_value
      - .offset:         28
        .size:           4
        .value_kind:     by_value
      - .offset:         32
        .size:           4
        .value_kind:     by_value
      - .offset:         36
        .size:           12
        .value_kind:     by_value
      - .offset:         48
        .size:           12
        .value_kind:     by_value
      - .offset:         60
        .size:           12
        .value_kind:     by_value
      - .offset:         72
        .size:           12
        .value_kind:     by_value
      - .offset:         84
        .size:           12
        .value_kind:     by_value
      - .offset:         96
        .size:           4
        .value_kind:     by_value
      - .offset:         100
        .size:           4
        .value_kind:     by_value
      - .offset:         104
        .size:           4
        .value_kind:     by_value
      - .offset:         108
        .size:           4
        .value_kind:     by_value
      - .offset:         112
        .size:           4
        .value_kind:     by_value
      - .offset:         116
        .size:           4
        .value_kind:     by_value
      - .offset:         120
        .size:           4
        .value_kind:     by_value
      - .offset:         124
        .size:           4
        .value_kind:     by_value
      - .offset:         128
        .size:           4
        .value_kind:     by_value
      - .offset:         132
        .size:           4
        .value_kind:     by_value
      - .offset:         136
        .size:           4
        .value_kind:     by_value
      - .address_space:  global
        .offset:         144
        .size:           8
        .value_kind:     global_buffer
      - .address_space:  global
        .offset:         152
        .size:           8
        .value_kind:     global_buffer
      - .address_space:  global
        .offset:         160
        .size:           8
        .value_kind:     global_buffer
      - .address_space:  global
        .offset:         168
        .size:           8
        .value_kind:     global_buffer
      - .offset:         176
        .size:           4
        .value_kind:     hidden_block_count_x
      - .offset:         180
        .size:           4
        .value_kind:     hidden_block_count_y
      - .offset:         184
        .size:           4
        .value_kind:     hidden_block_count_z
      - .offset:         188
        .size:           2
        .value_kind:     hidden_group_size_x
      - .offset:         190
        .size:           2
        .value_kind:     hidden_group_size_y
      - .offset:         192
        .size:           2
        .value_kind:     hidden_group_size_z
      - .offset:         194
        .size:           2
        .value_kind:     hidden_remainder_x
      - .offset:         196
        .size:           2
        .value_kind:     hidden_remainder_y
      - .offset:         198
        .size:           2
        .value_kind:     hidden_remainder_z
      - .offset:         216
        .size:           8
        .value_kind:     hidden_global_offset_x
      - .offset:         224
        .size:           8
        .value_kind:     hidden_global_offset_y
      - .offset:         232
        .size:           8
        .value_kind:     hidden_global_offset_z
      - .offset:         240
        .size:           2
        .value_kind:     hidden_grid_dims
    .group_segment_fixed_size: 0
    .kernarg_segment_align: 8
    .kernarg_segment_size: 432
    .language:       OpenCL C
    .language_version:
      - 2
      - 0
    .max_flat_workgroup_size: 1024
    .name:           _ZL11k_bin_bcastIXadL_ZL6op_mulffEE6__halfS0_S0_JPKS0_S2_S2_S2_EEvPKT0_PKT1_PT2_iii15HIP_vector_typeIjLj3EESC_SC_SC_SC_iiiiiiiiiiiDpT3_
    .private_segment_fixed_size: 0
    .sgpr_count:     38
    .sgpr_spill_count: 0
    .symbol:         _ZL11k_bin_bcastIXadL_ZL6op_mulffEE6__halfS0_S0_JPKS0_S2_S2_S2_EEvPKT0_PKT1_PT2_iii15HIP_vector_typeIjLj3EESC_SC_SC_SC_iiiiiiiiiiiDpT3_.kd
    .uniform_work_group_size: 1
    .uses_dynamic_stack: false
    .vgpr_count:     17
    .vgpr_spill_count: 0
    .wavefront_size: 32
    .workgroup_processor_mode: 1
  - .args:
      - .address_space:  global
        .offset:         0
        .size:           8
        .value_kind:     global_buffer
      - .address_space:  global
        .offset:         8
        .size:           8
        .value_kind:     global_buffer
      - .address_space:  global
        .offset:         16
        .size:           8
        .value_kind:     global_buffer
      - .offset:         24
        .size:           12
        .value_kind:     by_value
      - .offset:         36
        .size:           12
        .value_kind:     by_value
      - .offset:         48
        .size:           12
        .value_kind:     by_value
      - .offset:         60
        .size:           4
        .value_kind:     by_value
      - .offset:         64
        .size:           12
        .value_kind:     by_value
      - .offset:         76
        .size:           12
        .value_kind:     by_value
      - .offset:         88
        .size:           12
        .value_kind:     by_value
      - .offset:         100
        .size:           12
        .value_kind:     by_value
      - .offset:         112
        .size:           12
        .value_kind:     by_value
      - .offset:         124
        .size:           12
        .value_kind:     by_value
      - .offset:         136
        .size:           4
        .value_kind:     by_value
      - .offset:         140
        .size:           4
        .value_kind:     by_value
      - .offset:         144
        .size:           4
        .value_kind:     by_value
      - .offset:         148
        .size:           4
        .value_kind:     by_value
      - .offset:         152
        .size:           4
        .value_kind:     by_value
      - .offset:         156
        .size:           4
        .value_kind:     by_value
      - .offset:         160
        .size:           4
        .value_kind:     by_value
      - .offset:         164
        .size:           4
        .value_kind:     by_value
      - .offset:         168
        .size:           4
        .value_kind:     by_value
      - .offset:         172
        .size:           4
        .value_kind:     by_value
      - .offset:         176
        .size:           4
        .value_kind:     by_value
      - .address_space:  global
        .offset:         184
        .size:           8
        .value_kind:     global_buffer
      - .address_space:  global
        .offset:         192
        .size:           8
        .value_kind:     global_buffer
      - .address_space:  global
        .offset:         200
        .size:           8
        .value_kind:     global_buffer
      - .address_space:  global
        .offset:         208
        .size:           8
        .value_kind:     global_buffer
      - .offset:         216
        .size:           4
        .value_kind:     hidden_block_count_x
      - .offset:         220
        .size:           4
        .value_kind:     hidden_block_count_y
      - .offset:         224
        .size:           4
        .value_kind:     hidden_block_count_z
      - .offset:         228
        .size:           2
        .value_kind:     hidden_group_size_x
      - .offset:         230
        .size:           2
        .value_kind:     hidden_group_size_y
      - .offset:         232
        .size:           2
        .value_kind:     hidden_group_size_z
      - .offset:         234
        .size:           2
        .value_kind:     hidden_remainder_x
      - .offset:         236
        .size:           2
        .value_kind:     hidden_remainder_y
      - .offset:         238
        .size:           2
        .value_kind:     hidden_remainder_z
      - .offset:         256
        .size:           8
        .value_kind:     hidden_global_offset_x
      - .offset:         264
        .size:           8
        .value_kind:     hidden_global_offset_y
      - .offset:         272
        .size:           8
        .value_kind:     hidden_global_offset_z
      - .offset:         280
        .size:           2
        .value_kind:     hidden_grid_dims
    .group_segment_fixed_size: 0
    .kernarg_segment_align: 8
    .kernarg_segment_size: 472
    .language:       OpenCL C
    .language_version:
      - 2
      - 0
    .max_flat_workgroup_size: 1024
    .name:           _ZL19k_bin_bcast_unravelIXadL_ZL6op_mulffEE6__halffS0_JPKfS2_S2_S2_EEvPKT0_PKT1_PT2_15HIP_vector_typeIjLj3EESC_SC_jSC_SC_SC_SC_SC_SC_iiiiiiiiiiiDpT3_
    .private_segment_fixed_size: 0
    .sgpr_count:     30
    .sgpr_spill_count: 0
    .symbol:         _ZL19k_bin_bcast_unravelIXadL_ZL6op_mulffEE6__halffS0_JPKfS2_S2_S2_EEvPKT0_PKT1_PT2_15HIP_vector_typeIjLj3EESC_SC_jSC_SC_SC_SC_SC_SC_iiiiiiiiiiiDpT3_.kd
    .uniform_work_group_size: 1
    .uses_dynamic_stack: false
    .vgpr_count:     12
    .vgpr_spill_count: 0
    .wavefront_size: 32
    .workgroup_processor_mode: 1
  - .args:
      - .address_space:  global
        .offset:         0
        .size:           8
        .value_kind:     global_buffer
      - .address_space:  global
        .offset:         8
        .size:           8
        .value_kind:     global_buffer
      - .address_space:  global
        .offset:         16
        .size:           8
        .value_kind:     global_buffer
      - .offset:         24
        .size:           4
        .value_kind:     by_value
      - .offset:         28
        .size:           4
        .value_kind:     by_value
      - .offset:         32
        .size:           4
        .value_kind:     by_value
      - .offset:         36
        .size:           12
        .value_kind:     by_value
      - .offset:         48
        .size:           12
        .value_kind:     by_value
      - .offset:         60
        .size:           12
        .value_kind:     by_value
      - .offset:         72
        .size:           12
        .value_kind:     by_value
      - .offset:         84
        .size:           12
        .value_kind:     by_value
      - .offset:         96
        .size:           4
        .value_kind:     by_value
      - .offset:         100
        .size:           4
        .value_kind:     by_value
      - .offset:         104
        .size:           4
        .value_kind:     by_value
      - .offset:         108
        .size:           4
        .value_kind:     by_value
      - .offset:         112
        .size:           4
        .value_kind:     by_value
      - .offset:         116
        .size:           4
        .value_kind:     by_value
      - .offset:         120
        .size:           4
        .value_kind:     by_value
      - .offset:         124
        .size:           4
        .value_kind:     by_value
      - .offset:         128
        .size:           4
        .value_kind:     by_value
      - .offset:         132
        .size:           4
        .value_kind:     by_value
      - .offset:         136
        .size:           4
        .value_kind:     by_value
      - .address_space:  global
        .offset:         144
        .size:           8
        .value_kind:     global_buffer
      - .address_space:  global
        .offset:         152
        .size:           8
        .value_kind:     global_buffer
      - .address_space:  global
        .offset:         160
        .size:           8
        .value_kind:     global_buffer
      - .address_space:  global
        .offset:         168
        .size:           8
        .value_kind:     global_buffer
      - .offset:         176
        .size:           4
        .value_kind:     hidden_block_count_x
      - .offset:         180
        .size:           4
        .value_kind:     hidden_block_count_y
      - .offset:         184
        .size:           4
        .value_kind:     hidden_block_count_z
      - .offset:         188
        .size:           2
        .value_kind:     hidden_group_size_x
      - .offset:         190
        .size:           2
        .value_kind:     hidden_group_size_y
      - .offset:         192
        .size:           2
        .value_kind:     hidden_group_size_z
      - .offset:         194
        .size:           2
        .value_kind:     hidden_remainder_x
      - .offset:         196
        .size:           2
        .value_kind:     hidden_remainder_y
      - .offset:         198
        .size:           2
        .value_kind:     hidden_remainder_z
      - .offset:         216
        .size:           8
        .value_kind:     hidden_global_offset_x
      - .offset:         224
        .size:           8
        .value_kind:     hidden_global_offset_y
      - .offset:         232
        .size:           8
        .value_kind:     hidden_global_offset_z
      - .offset:         240
        .size:           2
        .value_kind:     hidden_grid_dims
    .group_segment_fixed_size: 0
    .kernarg_segment_align: 8
    .kernarg_segment_size: 432
    .language:       OpenCL C
    .language_version:
      - 2
      - 0
    .max_flat_workgroup_size: 1024
    .name:           _ZL11k_bin_bcastIXadL_ZL6op_mulffEE6__halffS0_JPKfS2_S2_S2_EEvPKT0_PKT1_PT2_iii15HIP_vector_typeIjLj3EESC_SC_SC_SC_iiiiiiiiiiiDpT3_
    .private_segment_fixed_size: 0
    .sgpr_count:     38
    .sgpr_spill_count: 0
    .symbol:         _ZL11k_bin_bcastIXadL_ZL6op_mulffEE6__halffS0_JPKfS2_S2_S2_EEvPKT0_PKT1_PT2_iii15HIP_vector_typeIjLj3EESC_SC_SC_SC_iiiiiiiiiiiDpT3_.kd
    .uniform_work_group_size: 1
    .uses_dynamic_stack: false
    .vgpr_count:     17
    .vgpr_spill_count: 0
    .wavefront_size: 32
    .workgroup_processor_mode: 1
  - .args:
      - .address_space:  global
        .offset:         0
        .size:           8
        .value_kind:     global_buffer
      - .address_space:  global
        .offset:         8
        .size:           8
        .value_kind:     global_buffer
      - .address_space:  global
        .offset:         16
        .size:           8
        .value_kind:     global_buffer
      - .offset:         24
        .size:           12
        .value_kind:     by_value
      - .offset:         36
        .size:           12
        .value_kind:     by_value
      - .offset:         48
        .size:           12
        .value_kind:     by_value
      - .offset:         60
        .size:           4
        .value_kind:     by_value
      - .offset:         64
        .size:           12
        .value_kind:     by_value
      - .offset:         76
        .size:           12
        .value_kind:     by_value
      - .offset:         88
        .size:           12
        .value_kind:     by_value
      - .offset:         100
        .size:           12
        .value_kind:     by_value
      - .offset:         112
        .size:           12
        .value_kind:     by_value
      - .offset:         124
        .size:           12
        .value_kind:     by_value
      - .offset:         136
        .size:           4
        .value_kind:     by_value
      - .offset:         140
        .size:           4
        .value_kind:     by_value
      - .offset:         144
        .size:           4
        .value_kind:     by_value
      - .offset:         148
        .size:           4
        .value_kind:     by_value
      - .offset:         152
        .size:           4
        .value_kind:     by_value
      - .offset:         156
        .size:           4
        .value_kind:     by_value
      - .offset:         160
        .size:           4
        .value_kind:     by_value
      - .offset:         164
        .size:           4
        .value_kind:     by_value
      - .offset:         168
        .size:           4
        .value_kind:     by_value
      - .offset:         172
        .size:           4
        .value_kind:     by_value
      - .offset:         176
        .size:           4
        .value_kind:     by_value
      - .address_space:  global
        .offset:         184
        .size:           8
        .value_kind:     global_buffer
      - .address_space:  global
        .offset:         192
        .size:           8
        .value_kind:     global_buffer
      - .address_space:  global
        .offset:         200
        .size:           8
        .value_kind:     global_buffer
      - .address_space:  global
        .offset:         208
        .size:           8
        .value_kind:     global_buffer
      - .offset:         216
        .size:           4
        .value_kind:     hidden_block_count_x
      - .offset:         220
        .size:           4
        .value_kind:     hidden_block_count_y
      - .offset:         224
        .size:           4
        .value_kind:     hidden_block_count_z
      - .offset:         228
        .size:           2
        .value_kind:     hidden_group_size_x
      - .offset:         230
        .size:           2
        .value_kind:     hidden_group_size_y
      - .offset:         232
        .size:           2
        .value_kind:     hidden_group_size_z
      - .offset:         234
        .size:           2
        .value_kind:     hidden_remainder_x
      - .offset:         236
        .size:           2
        .value_kind:     hidden_remainder_y
      - .offset:         238
        .size:           2
        .value_kind:     hidden_remainder_z
      - .offset:         256
        .size:           8
        .value_kind:     hidden_global_offset_x
      - .offset:         264
        .size:           8
        .value_kind:     hidden_global_offset_y
      - .offset:         272
        .size:           8
        .value_kind:     hidden_global_offset_z
      - .offset:         280
        .size:           2
        .value_kind:     hidden_grid_dims
    .group_segment_fixed_size: 0
    .kernarg_segment_align: 8
    .kernarg_segment_size: 472
    .language:       OpenCL C
    .language_version:
      - 2
      - 0
    .max_flat_workgroup_size: 1024
    .name:           _ZL19k_bin_bcast_unravelIXadL_ZL6op_mulffEE6__halfffJPKfS2_S2_S2_EEvPKT0_PKT1_PT2_15HIP_vector_typeIjLj3EESC_SC_jSC_SC_SC_SC_SC_SC_iiiiiiiiiiiDpT3_
    .private_segment_fixed_size: 0
    .sgpr_count:     30
    .sgpr_spill_count: 0
    .symbol:         _ZL19k_bin_bcast_unravelIXadL_ZL6op_mulffEE6__halfffJPKfS2_S2_S2_EEvPKT0_PKT1_PT2_15HIP_vector_typeIjLj3EESC_SC_jSC_SC_SC_SC_SC_SC_iiiiiiiiiiiDpT3_.kd
    .uniform_work_group_size: 1
    .uses_dynamic_stack: false
    .vgpr_count:     12
    .vgpr_spill_count: 0
    .wavefront_size: 32
    .workgroup_processor_mode: 1
  - .args:
      - .address_space:  global
        .offset:         0
        .size:           8
        .value_kind:     global_buffer
      - .address_space:  global
        .offset:         8
        .size:           8
        .value_kind:     global_buffer
      - .address_space:  global
        .offset:         16
        .size:           8
        .value_kind:     global_buffer
      - .offset:         24
        .size:           4
        .value_kind:     by_value
      - .offset:         28
        .size:           4
        .value_kind:     by_value
      - .offset:         32
        .size:           4
        .value_kind:     by_value
      - .offset:         36
        .size:           12
        .value_kind:     by_value
      - .offset:         48
        .size:           12
        .value_kind:     by_value
      - .offset:         60
        .size:           12
        .value_kind:     by_value
      - .offset:         72
        .size:           12
        .value_kind:     by_value
      - .offset:         84
        .size:           12
        .value_kind:     by_value
      - .offset:         96
        .size:           4
        .value_kind:     by_value
      - .offset:         100
        .size:           4
        .value_kind:     by_value
      - .offset:         104
        .size:           4
        .value_kind:     by_value
      - .offset:         108
        .size:           4
        .value_kind:     by_value
      - .offset:         112
        .size:           4
        .value_kind:     by_value
      - .offset:         116
        .size:           4
        .value_kind:     by_value
      - .offset:         120
        .size:           4
        .value_kind:     by_value
      - .offset:         124
        .size:           4
        .value_kind:     by_value
      - .offset:         128
        .size:           4
        .value_kind:     by_value
      - .offset:         132
        .size:           4
        .value_kind:     by_value
      - .offset:         136
        .size:           4
        .value_kind:     by_value
      - .address_space:  global
        .offset:         144
        .size:           8
        .value_kind:     global_buffer
      - .address_space:  global
        .offset:         152
        .size:           8
        .value_kind:     global_buffer
      - .address_space:  global
        .offset:         160
        .size:           8
        .value_kind:     global_buffer
      - .address_space:  global
        .offset:         168
        .size:           8
        .value_kind:     global_buffer
      - .offset:         176
        .size:           4
        .value_kind:     hidden_block_count_x
      - .offset:         180
        .size:           4
        .value_kind:     hidden_block_count_y
      - .offset:         184
        .size:           4
        .value_kind:     hidden_block_count_z
      - .offset:         188
        .size:           2
        .value_kind:     hidden_group_size_x
      - .offset:         190
        .size:           2
        .value_kind:     hidden_group_size_y
      - .offset:         192
        .size:           2
        .value_kind:     hidden_group_size_z
      - .offset:         194
        .size:           2
        .value_kind:     hidden_remainder_x
      - .offset:         196
        .size:           2
        .value_kind:     hidden_remainder_y
      - .offset:         198
        .size:           2
        .value_kind:     hidden_remainder_z
      - .offset:         216
        .size:           8
        .value_kind:     hidden_global_offset_x
      - .offset:         224
        .size:           8
        .value_kind:     hidden_global_offset_y
      - .offset:         232
        .size:           8
        .value_kind:     hidden_global_offset_z
      - .offset:         240
        .size:           2
        .value_kind:     hidden_grid_dims
    .group_segment_fixed_size: 0
    .kernarg_segment_align: 8
    .kernarg_segment_size: 432
    .language:       OpenCL C
    .language_version:
      - 2
      - 0
    .max_flat_workgroup_size: 1024
    .name:           _ZL11k_bin_bcastIXadL_ZL6op_mulffEE6__halfffJPKfS2_S2_S2_EEvPKT0_PKT1_PT2_iii15HIP_vector_typeIjLj3EESC_SC_SC_SC_iiiiiiiiiiiDpT3_
    .private_segment_fixed_size: 0
    .sgpr_count:     38
    .sgpr_spill_count: 0
    .symbol:         _ZL11k_bin_bcastIXadL_ZL6op_mulffEE6__halfffJPKfS2_S2_S2_EEvPKT0_PKT1_PT2_iii15HIP_vector_typeIjLj3EESC_SC_SC_SC_iiiiiiiiiiiDpT3_.kd
    .uniform_work_group_size: 1
    .uses_dynamic_stack: false
    .vgpr_count:     17
    .vgpr_spill_count: 0
    .wavefront_size: 32
    .workgroup_processor_mode: 1
  - .args:
      - .address_space:  global
        .offset:         0
        .size:           8
        .value_kind:     global_buffer
      - .address_space:  global
        .offset:         8
        .size:           8
        .value_kind:     global_buffer
      - .address_space:  global
        .offset:         16
        .size:           8
        .value_kind:     global_buffer
      - .offset:         24
        .size:           12
        .value_kind:     by_value
      - .offset:         36
        .size:           12
        .value_kind:     by_value
      - .offset:         48
        .size:           12
        .value_kind:     by_value
      - .offset:         60
        .size:           4
        .value_kind:     by_value
      - .offset:         64
        .size:           12
        .value_kind:     by_value
      - .offset:         76
        .size:           12
        .value_kind:     by_value
      - .offset:         88
        .size:           12
        .value_kind:     by_value
      - .offset:         100
        .size:           12
        .value_kind:     by_value
      - .offset:         112
        .size:           12
        .value_kind:     by_value
      - .offset:         124
        .size:           12
        .value_kind:     by_value
      - .offset:         136
        .size:           4
        .value_kind:     by_value
      - .offset:         140
        .size:           4
        .value_kind:     by_value
      - .offset:         144
        .size:           4
        .value_kind:     by_value
      - .offset:         148
        .size:           4
        .value_kind:     by_value
      - .offset:         152
        .size:           4
        .value_kind:     by_value
      - .offset:         156
        .size:           4
        .value_kind:     by_value
      - .offset:         160
        .size:           4
        .value_kind:     by_value
      - .offset:         164
        .size:           4
        .value_kind:     by_value
      - .offset:         168
        .size:           4
        .value_kind:     by_value
      - .offset:         172
        .size:           4
        .value_kind:     by_value
      - .offset:         176
        .size:           4
        .value_kind:     by_value
      - .address_space:  global
        .offset:         184
        .size:           8
        .value_kind:     global_buffer
      - .address_space:  global
        .offset:         192
        .size:           8
        .value_kind:     global_buffer
      - .address_space:  global
        .offset:         200
        .size:           8
        .value_kind:     global_buffer
      - .address_space:  global
        .offset:         208
        .size:           8
        .value_kind:     global_buffer
      - .address_space:  global
        .offset:         216
        .size:           8
        .value_kind:     global_buffer
      - .offset:         224
        .size:           4
        .value_kind:     hidden_block_count_x
      - .offset:         228
        .size:           4
        .value_kind:     hidden_block_count_y
      - .offset:         232
        .size:           4
        .value_kind:     hidden_block_count_z
      - .offset:         236
        .size:           2
        .value_kind:     hidden_group_size_x
      - .offset:         238
        .size:           2
        .value_kind:     hidden_group_size_y
      - .offset:         240
        .size:           2
        .value_kind:     hidden_group_size_z
      - .offset:         242
        .size:           2
        .value_kind:     hidden_remainder_x
      - .offset:         244
        .size:           2
        .value_kind:     hidden_remainder_y
      - .offset:         246
        .size:           2
        .value_kind:     hidden_remainder_z
      - .offset:         264
        .size:           8
        .value_kind:     hidden_global_offset_x
      - .offset:         272
        .size:           8
        .value_kind:     hidden_global_offset_y
      - .offset:         280
        .size:           8
        .value_kind:     hidden_global_offset_z
      - .offset:         288
        .size:           2
        .value_kind:     hidden_grid_dims
    .group_segment_fixed_size: 0
    .kernarg_segment_align: 8
    .kernarg_segment_size: 480
    .language:       OpenCL C
    .language_version:
      - 2
      - 0
    .max_flat_workgroup_size: 1024
    .name:           _ZL19k_bin_bcast_unravelIXadL_ZL6op_mulffEEfffJPKfS1_S1_S1_S1_EEvPKT0_PKT1_PT2_15HIP_vector_typeIjLj3EESB_SB_jSB_SB_SB_SB_SB_SB_iiiiiiiiiiiDpT3_
    .private_segment_fixed_size: 0
    .sgpr_count:     30
    .sgpr_spill_count: 0
    .symbol:         _ZL19k_bin_bcast_unravelIXadL_ZL6op_mulffEEfffJPKfS1_S1_S1_S1_EEvPKT0_PKT1_PT2_15HIP_vector_typeIjLj3EESB_SB_jSB_SB_SB_SB_SB_SB_iiiiiiiiiiiDpT3_.kd
    .uniform_work_group_size: 1
    .uses_dynamic_stack: false
    .vgpr_count:     13
    .vgpr_spill_count: 0
    .wavefront_size: 32
    .workgroup_processor_mode: 1
  - .args:
      - .address_space:  global
        .offset:         0
        .size:           8
        .value_kind:     global_buffer
      - .address_space:  global
        .offset:         8
        .size:           8
        .value_kind:     global_buffer
      - .address_space:  global
        .offset:         16
        .size:           8
        .value_kind:     global_buffer
      - .offset:         24
        .size:           4
        .value_kind:     by_value
      - .offset:         28
        .size:           4
        .value_kind:     by_value
      - .offset:         32
        .size:           4
        .value_kind:     by_value
      - .offset:         36
        .size:           12
        .value_kind:     by_value
      - .offset:         48
        .size:           12
        .value_kind:     by_value
      - .offset:         60
        .size:           12
        .value_kind:     by_value
      - .offset:         72
        .size:           12
        .value_kind:     by_value
      - .offset:         84
        .size:           12
        .value_kind:     by_value
      - .offset:         96
        .size:           4
        .value_kind:     by_value
      - .offset:         100
        .size:           4
        .value_kind:     by_value
      - .offset:         104
        .size:           4
        .value_kind:     by_value
      - .offset:         108
        .size:           4
        .value_kind:     by_value
      - .offset:         112
        .size:           4
        .value_kind:     by_value
      - .offset:         116
        .size:           4
        .value_kind:     by_value
      - .offset:         120
        .size:           4
        .value_kind:     by_value
      - .offset:         124
        .size:           4
        .value_kind:     by_value
      - .offset:         128
        .size:           4
        .value_kind:     by_value
      - .offset:         132
        .size:           4
        .value_kind:     by_value
      - .offset:         136
        .size:           4
        .value_kind:     by_value
      - .address_space:  global
        .offset:         144
        .size:           8
        .value_kind:     global_buffer
      - .address_space:  global
        .offset:         152
        .size:           8
        .value_kind:     global_buffer
      - .address_space:  global
        .offset:         160
        .size:           8
        .value_kind:     global_buffer
      - .address_space:  global
        .offset:         168
        .size:           8
        .value_kind:     global_buffer
      - .address_space:  global
        .offset:         176
        .size:           8
        .value_kind:     global_buffer
      - .offset:         184
        .size:           4
        .value_kind:     hidden_block_count_x
      - .offset:         188
        .size:           4
        .value_kind:     hidden_block_count_y
      - .offset:         192
        .size:           4
        .value_kind:     hidden_block_count_z
      - .offset:         196
        .size:           2
        .value_kind:     hidden_group_size_x
      - .offset:         198
        .size:           2
        .value_kind:     hidden_group_size_y
      - .offset:         200
        .size:           2
        .value_kind:     hidden_group_size_z
      - .offset:         202
        .size:           2
        .value_kind:     hidden_remainder_x
      - .offset:         204
        .size:           2
        .value_kind:     hidden_remainder_y
      - .offset:         206
        .size:           2
        .value_kind:     hidden_remainder_z
      - .offset:         224
        .size:           8
        .value_kind:     hidden_global_offset_x
      - .offset:         232
        .size:           8
        .value_kind:     hidden_global_offset_y
      - .offset:         240
        .size:           8
        .value_kind:     hidden_global_offset_z
      - .offset:         248
        .size:           2
        .value_kind:     hidden_grid_dims
    .group_segment_fixed_size: 0
    .kernarg_segment_align: 8
    .kernarg_segment_size: 440
    .language:       OpenCL C
    .language_version:
      - 2
      - 0
    .max_flat_workgroup_size: 1024
    .name:           _ZL11k_bin_bcastIXadL_ZL6op_mulffEEfffJPKfS1_S1_S1_S1_EEvPKT0_PKT1_PT2_iii15HIP_vector_typeIjLj3EESB_SB_SB_SB_iiiiiiiiiiiDpT3_
    .private_segment_fixed_size: 0
    .sgpr_count:     38
    .sgpr_spill_count: 0
    .symbol:         _ZL11k_bin_bcastIXadL_ZL6op_mulffEEfffJPKfS1_S1_S1_S1_EEvPKT0_PKT1_PT2_iii15HIP_vector_typeIjLj3EESB_SB_SB_SB_iiiiiiiiiiiDpT3_.kd
    .uniform_work_group_size: 1
    .uses_dynamic_stack: false
    .vgpr_count:     17
    .vgpr_spill_count: 0
    .wavefront_size: 32
    .workgroup_processor_mode: 1
  - .args:
      - .address_space:  global
        .offset:         0
        .size:           8
        .value_kind:     global_buffer
      - .address_space:  global
        .offset:         8
        .size:           8
        .value_kind:     global_buffer
      - .address_space:  global
        .offset:         16
        .size:           8
        .value_kind:     global_buffer
      - .offset:         24
        .size:           12
        .value_kind:     by_value
      - .offset:         36
        .size:           12
        .value_kind:     by_value
      - .offset:         48
        .size:           12
        .value_kind:     by_value
      - .offset:         60
        .size:           4
        .value_kind:     by_value
      - .offset:         64
        .size:           12
        .value_kind:     by_value
      - .offset:         76
        .size:           12
        .value_kind:     by_value
      - .offset:         88
        .size:           12
        .value_kind:     by_value
      - .offset:         100
        .size:           12
        .value_kind:     by_value
      - .offset:         112
        .size:           12
        .value_kind:     by_value
      - .offset:         124
        .size:           12
        .value_kind:     by_value
      - .offset:         136
        .size:           4
        .value_kind:     by_value
      - .offset:         140
        .size:           4
        .value_kind:     by_value
      - .offset:         144
        .size:           4
        .value_kind:     by_value
      - .offset:         148
        .size:           4
        .value_kind:     by_value
      - .offset:         152
        .size:           4
        .value_kind:     by_value
      - .offset:         156
        .size:           4
        .value_kind:     by_value
      - .offset:         160
        .size:           4
        .value_kind:     by_value
      - .offset:         164
        .size:           4
        .value_kind:     by_value
      - .offset:         168
        .size:           4
        .value_kind:     by_value
      - .offset:         172
        .size:           4
        .value_kind:     by_value
      - .offset:         176
        .size:           4
        .value_kind:     by_value
      - .address_space:  global
        .offset:         184
        .size:           8
        .value_kind:     global_buffer
      - .address_space:  global
        .offset:         192
        .size:           8
        .value_kind:     global_buffer
      - .address_space:  global
        .offset:         200
        .size:           8
        .value_kind:     global_buffer
      - .address_space:  global
        .offset:         208
        .size:           8
        .value_kind:     global_buffer
      - .address_space:  global
        .offset:         216
        .size:           8
        .value_kind:     global_buffer
      - .offset:         224
        .size:           4
        .value_kind:     hidden_block_count_x
      - .offset:         228
        .size:           4
        .value_kind:     hidden_block_count_y
      - .offset:         232
        .size:           4
        .value_kind:     hidden_block_count_z
      - .offset:         236
        .size:           2
        .value_kind:     hidden_group_size_x
      - .offset:         238
        .size:           2
        .value_kind:     hidden_group_size_y
      - .offset:         240
        .size:           2
        .value_kind:     hidden_group_size_z
      - .offset:         242
        .size:           2
        .value_kind:     hidden_remainder_x
      - .offset:         244
        .size:           2
        .value_kind:     hidden_remainder_y
      - .offset:         246
        .size:           2
        .value_kind:     hidden_remainder_z
      - .offset:         264
        .size:           8
        .value_kind:     hidden_global_offset_x
      - .offset:         272
        .size:           8
        .value_kind:     hidden_global_offset_y
      - .offset:         280
        .size:           8
        .value_kind:     hidden_global_offset_z
      - .offset:         288
        .size:           2
        .value_kind:     hidden_grid_dims
    .group_segment_fixed_size: 0
    .kernarg_segment_align: 8
    .kernarg_segment_size: 480
    .language:       OpenCL C
    .language_version:
      - 2
      - 0
    .max_flat_workgroup_size: 1024
    .name:           _ZL19k_bin_bcast_unravelIXadL_ZL6op_mulffEE6__halfS0_S0_JPKS0_S2_S2_S2_S2_EEvPKT0_PKT1_PT2_15HIP_vector_typeIjLj3EESC_SC_jSC_SC_SC_SC_SC_SC_iiiiiiiiiiiDpT3_
    .private_segment_fixed_size: 0
    .sgpr_count:     30
    .sgpr_spill_count: 0
    .symbol:         _ZL19k_bin_bcast_unravelIXadL_ZL6op_mulffEE6__halfS0_S0_JPKS0_S2_S2_S2_S2_EEvPKT0_PKT1_PT2_15HIP_vector_typeIjLj3EESC_SC_jSC_SC_SC_SC_SC_SC_iiiiiiiiiiiDpT3_.kd
    .uniform_work_group_size: 1
    .uses_dynamic_stack: false
    .vgpr_count:     13
    .vgpr_spill_count: 0
    .wavefront_size: 32
    .workgroup_processor_mode: 1
  - .args:
      - .address_space:  global
        .offset:         0
        .size:           8
        .value_kind:     global_buffer
      - .address_space:  global
        .offset:         8
        .size:           8
        .value_kind:     global_buffer
      - .address_space:  global
        .offset:         16
        .size:           8
        .value_kind:     global_buffer
      - .offset:         24
        .size:           4
        .value_kind:     by_value
      - .offset:         28
        .size:           4
        .value_kind:     by_value
      - .offset:         32
        .size:           4
        .value_kind:     by_value
      - .offset:         36
        .size:           12
        .value_kind:     by_value
      - .offset:         48
        .size:           12
        .value_kind:     by_value
      - .offset:         60
        .size:           12
        .value_kind:     by_value
      - .offset:         72
        .size:           12
        .value_kind:     by_value
      - .offset:         84
        .size:           12
        .value_kind:     by_value
      - .offset:         96
        .size:           4
        .value_kind:     by_value
      - .offset:         100
        .size:           4
        .value_kind:     by_value
      - .offset:         104
        .size:           4
        .value_kind:     by_value
      - .offset:         108
        .size:           4
        .value_kind:     by_value
      - .offset:         112
        .size:           4
        .value_kind:     by_value
      - .offset:         116
        .size:           4
        .value_kind:     by_value
      - .offset:         120
        .size:           4
        .value_kind:     by_value
      - .offset:         124
        .size:           4
        .value_kind:     by_value
      - .offset:         128
        .size:           4
        .value_kind:     by_value
      - .offset:         132
        .size:           4
        .value_kind:     by_value
      - .offset:         136
        .size:           4
        .value_kind:     by_value
      - .address_space:  global
        .offset:         144
        .size:           8
        .value_kind:     global_buffer
      - .address_space:  global
        .offset:         152
        .size:           8
        .value_kind:     global_buffer
      - .address_space:  global
        .offset:         160
        .size:           8
        .value_kind:     global_buffer
      - .address_space:  global
        .offset:         168
        .size:           8
        .value_kind:     global_buffer
      - .address_space:  global
        .offset:         176
        .size:           8
        .value_kind:     global_buffer
      - .offset:         184
        .size:           4
        .value_kind:     hidden_block_count_x
      - .offset:         188
        .size:           4
        .value_kind:     hidden_block_count_y
      - .offset:         192
        .size:           4
        .value_kind:     hidden_block_count_z
      - .offset:         196
        .size:           2
        .value_kind:     hidden_group_size_x
      - .offset:         198
        .size:           2
        .value_kind:     hidden_group_size_y
      - .offset:         200
        .size:           2
        .value_kind:     hidden_group_size_z
      - .offset:         202
        .size:           2
        .value_kind:     hidden_remainder_x
      - .offset:         204
        .size:           2
        .value_kind:     hidden_remainder_y
      - .offset:         206
        .size:           2
        .value_kind:     hidden_remainder_z
      - .offset:         224
        .size:           8
        .value_kind:     hidden_global_offset_x
      - .offset:         232
        .size:           8
        .value_kind:     hidden_global_offset_y
      - .offset:         240
        .size:           8
        .value_kind:     hidden_global_offset_z
      - .offset:         248
        .size:           2
        .value_kind:     hidden_grid_dims
    .group_segment_fixed_size: 0
    .kernarg_segment_align: 8
    .kernarg_segment_size: 440
    .language:       OpenCL C
    .language_version:
      - 2
      - 0
    .max_flat_workgroup_size: 1024
    .name:           _ZL11k_bin_bcastIXadL_ZL6op_mulffEE6__halfS0_S0_JPKS0_S2_S2_S2_S2_EEvPKT0_PKT1_PT2_iii15HIP_vector_typeIjLj3EESC_SC_SC_SC_iiiiiiiiiiiDpT3_
    .private_segment_fixed_size: 0
    .sgpr_count:     38
    .sgpr_spill_count: 0
    .symbol:         _ZL11k_bin_bcastIXadL_ZL6op_mulffEE6__halfS0_S0_JPKS0_S2_S2_S2_S2_EEvPKT0_PKT1_PT2_iii15HIP_vector_typeIjLj3EESC_SC_SC_SC_iiiiiiiiiiiDpT3_.kd
    .uniform_work_group_size: 1
    .uses_dynamic_stack: false
    .vgpr_count:     17
    .vgpr_spill_count: 0
    .wavefront_size: 32
    .workgroup_processor_mode: 1
  - .args:
      - .address_space:  global
        .offset:         0
        .size:           8
        .value_kind:     global_buffer
      - .address_space:  global
        .offset:         8
        .size:           8
        .value_kind:     global_buffer
      - .address_space:  global
        .offset:         16
        .size:           8
        .value_kind:     global_buffer
      - .offset:         24
        .size:           12
        .value_kind:     by_value
      - .offset:         36
        .size:           12
        .value_kind:     by_value
      - .offset:         48
        .size:           12
        .value_kind:     by_value
      - .offset:         60
        .size:           4
        .value_kind:     by_value
      - .offset:         64
        .size:           12
        .value_kind:     by_value
      - .offset:         76
        .size:           12
        .value_kind:     by_value
      - .offset:         88
        .size:           12
        .value_kind:     by_value
      - .offset:         100
        .size:           12
        .value_kind:     by_value
      - .offset:         112
        .size:           12
        .value_kind:     by_value
      - .offset:         124
        .size:           12
        .value_kind:     by_value
      - .offset:         136
        .size:           4
        .value_kind:     by_value
      - .offset:         140
        .size:           4
        .value_kind:     by_value
      - .offset:         144
        .size:           4
        .value_kind:     by_value
      - .offset:         148
        .size:           4
        .value_kind:     by_value
      - .offset:         152
        .size:           4
        .value_kind:     by_value
      - .offset:         156
        .size:           4
        .value_kind:     by_value
      - .offset:         160
        .size:           4
        .value_kind:     by_value
      - .offset:         164
        .size:           4
        .value_kind:     by_value
      - .offset:         168
        .size:           4
        .value_kind:     by_value
      - .offset:         172
        .size:           4
        .value_kind:     by_value
      - .offset:         176
        .size:           4
        .value_kind:     by_value
      - .address_space:  global
        .offset:         184
        .size:           8
        .value_kind:     global_buffer
      - .address_space:  global
        .offset:         192
        .size:           8
        .value_kind:     global_buffer
      - .address_space:  global
        .offset:         200
        .size:           8
        .value_kind:     global_buffer
      - .address_space:  global
        .offset:         208
        .size:           8
        .value_kind:     global_buffer
      - .address_space:  global
        .offset:         216
        .size:           8
        .value_kind:     global_buffer
      - .offset:         224
        .size:           4
        .value_kind:     hidden_block_count_x
      - .offset:         228
        .size:           4
        .value_kind:     hidden_block_count_y
      - .offset:         232
        .size:           4
        .value_kind:     hidden_block_count_z
      - .offset:         236
        .size:           2
        .value_kind:     hidden_group_size_x
      - .offset:         238
        .size:           2
        .value_kind:     hidden_group_size_y
      - .offset:         240
        .size:           2
        .value_kind:     hidden_group_size_z
      - .offset:         242
        .size:           2
        .value_kind:     hidden_remainder_x
      - .offset:         244
        .size:           2
        .value_kind:     hidden_remainder_y
      - .offset:         246
        .size:           2
        .value_kind:     hidden_remainder_z
      - .offset:         264
        .size:           8
        .value_kind:     hidden_global_offset_x
      - .offset:         272
        .size:           8
        .value_kind:     hidden_global_offset_y
      - .offset:         280
        .size:           8
        .value_kind:     hidden_global_offset_z
      - .offset:         288
        .size:           2
        .value_kind:     hidden_grid_dims
    .group_segment_fixed_size: 0
    .kernarg_segment_align: 8
    .kernarg_segment_size: 480
    .language:       OpenCL C
    .language_version:
      - 2
      - 0
    .max_flat_workgroup_size: 1024
    .name:           _ZL19k_bin_bcast_unravelIXadL_ZL6op_mulffEE6__halffS0_JPKfS2_S2_S2_S2_EEvPKT0_PKT1_PT2_15HIP_vector_typeIjLj3EESC_SC_jSC_SC_SC_SC_SC_SC_iiiiiiiiiiiDpT3_
    .private_segment_fixed_size: 0
    .sgpr_count:     30
    .sgpr_spill_count: 0
    .symbol:         _ZL19k_bin_bcast_unravelIXadL_ZL6op_mulffEE6__halffS0_JPKfS2_S2_S2_S2_EEvPKT0_PKT1_PT2_15HIP_vector_typeIjLj3EESC_SC_jSC_SC_SC_SC_SC_SC_iiiiiiiiiiiDpT3_.kd
    .uniform_work_group_size: 1
    .uses_dynamic_stack: false
    .vgpr_count:     13
    .vgpr_spill_count: 0
    .wavefront_size: 32
    .workgroup_processor_mode: 1
  - .args:
      - .address_space:  global
        .offset:         0
        .size:           8
        .value_kind:     global_buffer
      - .address_space:  global
        .offset:         8
        .size:           8
        .value_kind:     global_buffer
      - .address_space:  global
        .offset:         16
        .size:           8
        .value_kind:     global_buffer
      - .offset:         24
        .size:           4
        .value_kind:     by_value
      - .offset:         28
        .size:           4
        .value_kind:     by_value
      - .offset:         32
        .size:           4
        .value_kind:     by_value
      - .offset:         36
        .size:           12
        .value_kind:     by_value
      - .offset:         48
        .size:           12
        .value_kind:     by_value
      - .offset:         60
        .size:           12
        .value_kind:     by_value
      - .offset:         72
        .size:           12
        .value_kind:     by_value
      - .offset:         84
        .size:           12
        .value_kind:     by_value
      - .offset:         96
        .size:           4
        .value_kind:     by_value
      - .offset:         100
        .size:           4
        .value_kind:     by_value
      - .offset:         104
        .size:           4
        .value_kind:     by_value
      - .offset:         108
        .size:           4
        .value_kind:     by_value
      - .offset:         112
        .size:           4
        .value_kind:     by_value
      - .offset:         116
        .size:           4
        .value_kind:     by_value
      - .offset:         120
        .size:           4
        .value_kind:     by_value
      - .offset:         124
        .size:           4
        .value_kind:     by_value
      - .offset:         128
        .size:           4
        .value_kind:     by_value
      - .offset:         132
        .size:           4
        .value_kind:     by_value
      - .offset:         136
        .size:           4
        .value_kind:     by_value
      - .address_space:  global
        .offset:         144
        .size:           8
        .value_kind:     global_buffer
      - .address_space:  global
        .offset:         152
        .size:           8
        .value_kind:     global_buffer
      - .address_space:  global
        .offset:         160
        .size:           8
        .value_kind:     global_buffer
      - .address_space:  global
        .offset:         168
        .size:           8
        .value_kind:     global_buffer
      - .address_space:  global
        .offset:         176
        .size:           8
        .value_kind:     global_buffer
      - .offset:         184
        .size:           4
        .value_kind:     hidden_block_count_x
      - .offset:         188
        .size:           4
        .value_kind:     hidden_block_count_y
      - .offset:         192
        .size:           4
        .value_kind:     hidden_block_count_z
      - .offset:         196
        .size:           2
        .value_kind:     hidden_group_size_x
      - .offset:         198
        .size:           2
        .value_kind:     hidden_group_size_y
      - .offset:         200
        .size:           2
        .value_kind:     hidden_group_size_z
      - .offset:         202
        .size:           2
        .value_kind:     hidden_remainder_x
      - .offset:         204
        .size:           2
        .value_kind:     hidden_remainder_y
      - .offset:         206
        .size:           2
        .value_kind:     hidden_remainder_z
      - .offset:         224
        .size:           8
        .value_kind:     hidden_global_offset_x
      - .offset:         232
        .size:           8
        .value_kind:     hidden_global_offset_y
      - .offset:         240
        .size:           8
        .value_kind:     hidden_global_offset_z
      - .offset:         248
        .size:           2
        .value_kind:     hidden_grid_dims
    .group_segment_fixed_size: 0
    .kernarg_segment_align: 8
    .kernarg_segment_size: 440
    .language:       OpenCL C
    .language_version:
      - 2
      - 0
    .max_flat_workgroup_size: 1024
    .name:           _ZL11k_bin_bcastIXadL_ZL6op_mulffEE6__halffS0_JPKfS2_S2_S2_S2_EEvPKT0_PKT1_PT2_iii15HIP_vector_typeIjLj3EESC_SC_SC_SC_iiiiiiiiiiiDpT3_
    .private_segment_fixed_size: 0
    .sgpr_count:     38
    .sgpr_spill_count: 0
    .symbol:         _ZL11k_bin_bcastIXadL_ZL6op_mulffEE6__halffS0_JPKfS2_S2_S2_S2_EEvPKT0_PKT1_PT2_iii15HIP_vector_typeIjLj3EESC_SC_SC_SC_iiiiiiiiiiiDpT3_.kd
    .uniform_work_group_size: 1
    .uses_dynamic_stack: false
    .vgpr_count:     17
    .vgpr_spill_count: 0
    .wavefront_size: 32
    .workgroup_processor_mode: 1
  - .args:
      - .address_space:  global
        .offset:         0
        .size:           8
        .value_kind:     global_buffer
      - .address_space:  global
        .offset:         8
        .size:           8
        .value_kind:     global_buffer
      - .address_space:  global
        .offset:         16
        .size:           8
        .value_kind:     global_buffer
      - .offset:         24
        .size:           12
        .value_kind:     by_value
      - .offset:         36
        .size:           12
        .value_kind:     by_value
      - .offset:         48
        .size:           12
        .value_kind:     by_value
      - .offset:         60
        .size:           4
        .value_kind:     by_value
      - .offset:         64
        .size:           12
        .value_kind:     by_value
      - .offset:         76
        .size:           12
        .value_kind:     by_value
      - .offset:         88
        .size:           12
        .value_kind:     by_value
      - .offset:         100
        .size:           12
        .value_kind:     by_value
      - .offset:         112
        .size:           12
        .value_kind:     by_value
      - .offset:         124
        .size:           12
        .value_kind:     by_value
      - .offset:         136
        .size:           4
        .value_kind:     by_value
      - .offset:         140
        .size:           4
        .value_kind:     by_value
      - .offset:         144
        .size:           4
        .value_kind:     by_value
      - .offset:         148
        .size:           4
        .value_kind:     by_value
      - .offset:         152
        .size:           4
        .value_kind:     by_value
      - .offset:         156
        .size:           4
        .value_kind:     by_value
      - .offset:         160
        .size:           4
        .value_kind:     by_value
      - .offset:         164
        .size:           4
        .value_kind:     by_value
      - .offset:         168
        .size:           4
        .value_kind:     by_value
      - .offset:         172
        .size:           4
        .value_kind:     by_value
      - .offset:         176
        .size:           4
        .value_kind:     by_value
      - .address_space:  global
        .offset:         184
        .size:           8
        .value_kind:     global_buffer
      - .address_space:  global
        .offset:         192
        .size:           8
        .value_kind:     global_buffer
      - .address_space:  global
        .offset:         200
        .size:           8
        .value_kind:     global_buffer
      - .address_space:  global
        .offset:         208
        .size:           8
        .value_kind:     global_buffer
      - .address_space:  global
        .offset:         216
        .size:           8
        .value_kind:     global_buffer
      - .offset:         224
        .size:           4
        .value_kind:     hidden_block_count_x
      - .offset:         228
        .size:           4
        .value_kind:     hidden_block_count_y
      - .offset:         232
        .size:           4
        .value_kind:     hidden_block_count_z
      - .offset:         236
        .size:           2
        .value_kind:     hidden_group_size_x
      - .offset:         238
        .size:           2
        .value_kind:     hidden_group_size_y
      - .offset:         240
        .size:           2
        .value_kind:     hidden_group_size_z
      - .offset:         242
        .size:           2
        .value_kind:     hidden_remainder_x
      - .offset:         244
        .size:           2
        .value_kind:     hidden_remainder_y
      - .offset:         246
        .size:           2
        .value_kind:     hidden_remainder_z
      - .offset:         264
        .size:           8
        .value_kind:     hidden_global_offset_x
      - .offset:         272
        .size:           8
        .value_kind:     hidden_global_offset_y
      - .offset:         280
        .size:           8
        .value_kind:     hidden_global_offset_z
      - .offset:         288
        .size:           2
        .value_kind:     hidden_grid_dims
    .group_segment_fixed_size: 0
    .kernarg_segment_align: 8
    .kernarg_segment_size: 480
    .language:       OpenCL C
    .language_version:
      - 2
      - 0
    .max_flat_workgroup_size: 1024
    .name:           _ZL19k_bin_bcast_unravelIXadL_ZL6op_mulffEE6__halfffJPKfS2_S2_S2_S2_EEvPKT0_PKT1_PT2_15HIP_vector_typeIjLj3EESC_SC_jSC_SC_SC_SC_SC_SC_iiiiiiiiiiiDpT3_
    .private_segment_fixed_size: 0
    .sgpr_count:     30
    .sgpr_spill_count: 0
    .symbol:         _ZL19k_bin_bcast_unravelIXadL_ZL6op_mulffEE6__halfffJPKfS2_S2_S2_S2_EEvPKT0_PKT1_PT2_15HIP_vector_typeIjLj3EESC_SC_jSC_SC_SC_SC_SC_SC_iiiiiiiiiiiDpT3_.kd
    .uniform_work_group_size: 1
    .uses_dynamic_stack: false
    .vgpr_count:     13
    .vgpr_spill_count: 0
    .wavefront_size: 32
    .workgroup_processor_mode: 1
  - .args:
      - .address_space:  global
        .offset:         0
        .size:           8
        .value_kind:     global_buffer
      - .address_space:  global
        .offset:         8
        .size:           8
        .value_kind:     global_buffer
      - .address_space:  global
        .offset:         16
        .size:           8
        .value_kind:     global_buffer
      - .offset:         24
        .size:           4
        .value_kind:     by_value
      - .offset:         28
        .size:           4
        .value_kind:     by_value
      - .offset:         32
        .size:           4
        .value_kind:     by_value
      - .offset:         36
        .size:           12
        .value_kind:     by_value
      - .offset:         48
        .size:           12
        .value_kind:     by_value
      - .offset:         60
        .size:           12
        .value_kind:     by_value
      - .offset:         72
        .size:           12
        .value_kind:     by_value
      - .offset:         84
        .size:           12
        .value_kind:     by_value
      - .offset:         96
        .size:           4
        .value_kind:     by_value
      - .offset:         100
        .size:           4
        .value_kind:     by_value
      - .offset:         104
        .size:           4
        .value_kind:     by_value
      - .offset:         108
        .size:           4
        .value_kind:     by_value
      - .offset:         112
        .size:           4
        .value_kind:     by_value
      - .offset:         116
        .size:           4
        .value_kind:     by_value
      - .offset:         120
        .size:           4
        .value_kind:     by_value
      - .offset:         124
        .size:           4
        .value_kind:     by_value
      - .offset:         128
        .size:           4
        .value_kind:     by_value
      - .offset:         132
        .size:           4
        .value_kind:     by_value
      - .offset:         136
        .size:           4
        .value_kind:     by_value
      - .address_space:  global
        .offset:         144
        .size:           8
        .value_kind:     global_buffer
      - .address_space:  global
        .offset:         152
        .size:           8
        .value_kind:     global_buffer
      - .address_space:  global
        .offset:         160
        .size:           8
        .value_kind:     global_buffer
      - .address_space:  global
        .offset:         168
        .size:           8
        .value_kind:     global_buffer
      - .address_space:  global
        .offset:         176
        .size:           8
        .value_kind:     global_buffer
      - .offset:         184
        .size:           4
        .value_kind:     hidden_block_count_x
      - .offset:         188
        .size:           4
        .value_kind:     hidden_block_count_y
      - .offset:         192
        .size:           4
        .value_kind:     hidden_block_count_z
      - .offset:         196
        .size:           2
        .value_kind:     hidden_group_size_x
      - .offset:         198
        .size:           2
        .value_kind:     hidden_group_size_y
      - .offset:         200
        .size:           2
        .value_kind:     hidden_group_size_z
      - .offset:         202
        .size:           2
        .value_kind:     hidden_remainder_x
      - .offset:         204
        .size:           2
        .value_kind:     hidden_remainder_y
      - .offset:         206
        .size:           2
        .value_kind:     hidden_remainder_z
      - .offset:         224
        .size:           8
        .value_kind:     hidden_global_offset_x
      - .offset:         232
        .size:           8
        .value_kind:     hidden_global_offset_y
      - .offset:         240
        .size:           8
        .value_kind:     hidden_global_offset_z
      - .offset:         248
        .size:           2
        .value_kind:     hidden_grid_dims
    .group_segment_fixed_size: 0
    .kernarg_segment_align: 8
    .kernarg_segment_size: 440
    .language:       OpenCL C
    .language_version:
      - 2
      - 0
    .max_flat_workgroup_size: 1024
    .name:           _ZL11k_bin_bcastIXadL_ZL6op_mulffEE6__halfffJPKfS2_S2_S2_S2_EEvPKT0_PKT1_PT2_iii15HIP_vector_typeIjLj3EESC_SC_SC_SC_iiiiiiiiiiiDpT3_
    .private_segment_fixed_size: 0
    .sgpr_count:     38
    .sgpr_spill_count: 0
    .symbol:         _ZL11k_bin_bcastIXadL_ZL6op_mulffEE6__halfffJPKfS2_S2_S2_S2_EEvPKT0_PKT1_PT2_iii15HIP_vector_typeIjLj3EESC_SC_SC_SC_iiiiiiiiiiiDpT3_.kd
    .uniform_work_group_size: 1
    .uses_dynamic_stack: false
    .vgpr_count:     17
    .vgpr_spill_count: 0
    .wavefront_size: 32
    .workgroup_processor_mode: 1
  - .args:
      - .address_space:  global
        .offset:         0
        .size:           8
        .value_kind:     global_buffer
      - .address_space:  global
        .offset:         8
        .size:           8
        .value_kind:     global_buffer
      - .address_space:  global
        .offset:         16
        .size:           8
        .value_kind:     global_buffer
      - .offset:         24
        .size:           12
        .value_kind:     by_value
      - .offset:         36
        .size:           12
        .value_kind:     by_value
      - .offset:         48
        .size:           12
        .value_kind:     by_value
      - .offset:         60
        .size:           4
        .value_kind:     by_value
      - .offset:         64
        .size:           12
        .value_kind:     by_value
      - .offset:         76
        .size:           12
        .value_kind:     by_value
      - .offset:         88
        .size:           12
        .value_kind:     by_value
      - .offset:         100
        .size:           12
        .value_kind:     by_value
      - .offset:         112
        .size:           12
        .value_kind:     by_value
      - .offset:         124
        .size:           12
        .value_kind:     by_value
      - .offset:         136
        .size:           4
        .value_kind:     by_value
      - .offset:         140
        .size:           4
        .value_kind:     by_value
      - .offset:         144
        .size:           4
        .value_kind:     by_value
      - .offset:         148
        .size:           4
        .value_kind:     by_value
      - .offset:         152
        .size:           4
        .value_kind:     by_value
      - .offset:         156
        .size:           4
        .value_kind:     by_value
      - .offset:         160
        .size:           4
        .value_kind:     by_value
      - .offset:         164
        .size:           4
        .value_kind:     by_value
      - .offset:         168
        .size:           4
        .value_kind:     by_value
      - .offset:         172
        .size:           4
        .value_kind:     by_value
      - .offset:         176
        .size:           4
        .value_kind:     by_value
      - .address_space:  global
        .offset:         184
        .size:           8
        .value_kind:     global_buffer
      - .address_space:  global
        .offset:         192
        .size:           8
        .value_kind:     global_buffer
      - .address_space:  global
        .offset:         200
        .size:           8
        .value_kind:     global_buffer
      - .address_space:  global
        .offset:         208
        .size:           8
        .value_kind:     global_buffer
      - .address_space:  global
        .offset:         216
        .size:           8
        .value_kind:     global_buffer
      - .address_space:  global
        .offset:         224
        .size:           8
        .value_kind:     global_buffer
      - .offset:         232
        .size:           4
        .value_kind:     hidden_block_count_x
      - .offset:         236
        .size:           4
        .value_kind:     hidden_block_count_y
      - .offset:         240
        .size:           4
        .value_kind:     hidden_block_count_z
      - .offset:         244
        .size:           2
        .value_kind:     hidden_group_size_x
      - .offset:         246
        .size:           2
        .value_kind:     hidden_group_size_y
      - .offset:         248
        .size:           2
        .value_kind:     hidden_group_size_z
      - .offset:         250
        .size:           2
        .value_kind:     hidden_remainder_x
      - .offset:         252
        .size:           2
        .value_kind:     hidden_remainder_y
      - .offset:         254
        .size:           2
        .value_kind:     hidden_remainder_z
      - .offset:         272
        .size:           8
        .value_kind:     hidden_global_offset_x
      - .offset:         280
        .size:           8
        .value_kind:     hidden_global_offset_y
      - .offset:         288
        .size:           8
        .value_kind:     hidden_global_offset_z
      - .offset:         296
        .size:           2
        .value_kind:     hidden_grid_dims
    .group_segment_fixed_size: 0
    .kernarg_segment_align: 8
    .kernarg_segment_size: 488
    .language:       OpenCL C
    .language_version:
      - 2
      - 0
    .max_flat_workgroup_size: 1024
    .name:           _ZL19k_bin_bcast_unravelIXadL_ZL6op_mulffEEfffJPKfS1_S1_S1_S1_S1_EEvPKT0_PKT1_PT2_15HIP_vector_typeIjLj3EESB_SB_jSB_SB_SB_SB_SB_SB_iiiiiiiiiiiDpT3_
    .private_segment_fixed_size: 0
    .sgpr_count:     30
    .sgpr_spill_count: 0
    .symbol:         _ZL19k_bin_bcast_unravelIXadL_ZL6op_mulffEEfffJPKfS1_S1_S1_S1_S1_EEvPKT0_PKT1_PT2_15HIP_vector_typeIjLj3EESB_SB_jSB_SB_SB_SB_SB_SB_iiiiiiiiiiiDpT3_.kd
    .uniform_work_group_size: 1
    .uses_dynamic_stack: false
    .vgpr_count:     14
    .vgpr_spill_count: 0
    .wavefront_size: 32
    .workgroup_processor_mode: 1
  - .args:
      - .address_space:  global
        .offset:         0
        .size:           8
        .value_kind:     global_buffer
      - .address_space:  global
        .offset:         8
        .size:           8
        .value_kind:     global_buffer
      - .address_space:  global
        .offset:         16
        .size:           8
        .value_kind:     global_buffer
      - .offset:         24
        .size:           4
        .value_kind:     by_value
      - .offset:         28
        .size:           4
        .value_kind:     by_value
      - .offset:         32
        .size:           4
        .value_kind:     by_value
      - .offset:         36
        .size:           12
        .value_kind:     by_value
      - .offset:         48
        .size:           12
        .value_kind:     by_value
      - .offset:         60
        .size:           12
        .value_kind:     by_value
      - .offset:         72
        .size:           12
        .value_kind:     by_value
      - .offset:         84
        .size:           12
        .value_kind:     by_value
      - .offset:         96
        .size:           4
        .value_kind:     by_value
      - .offset:         100
        .size:           4
        .value_kind:     by_value
      - .offset:         104
        .size:           4
        .value_kind:     by_value
      - .offset:         108
        .size:           4
        .value_kind:     by_value
      - .offset:         112
        .size:           4
        .value_kind:     by_value
      - .offset:         116
        .size:           4
        .value_kind:     by_value
      - .offset:         120
        .size:           4
        .value_kind:     by_value
      - .offset:         124
        .size:           4
        .value_kind:     by_value
      - .offset:         128
        .size:           4
        .value_kind:     by_value
      - .offset:         132
        .size:           4
        .value_kind:     by_value
      - .offset:         136
        .size:           4
        .value_kind:     by_value
      - .address_space:  global
        .offset:         144
        .size:           8
        .value_kind:     global_buffer
      - .address_space:  global
        .offset:         152
        .size:           8
        .value_kind:     global_buffer
      - .address_space:  global
        .offset:         160
        .size:           8
        .value_kind:     global_buffer
      - .address_space:  global
        .offset:         168
        .size:           8
        .value_kind:     global_buffer
      - .address_space:  global
        .offset:         176
        .size:           8
        .value_kind:     global_buffer
      - .address_space:  global
        .offset:         184
        .size:           8
        .value_kind:     global_buffer
      - .offset:         192
        .size:           4
        .value_kind:     hidden_block_count_x
      - .offset:         196
        .size:           4
        .value_kind:     hidden_block_count_y
      - .offset:         200
        .size:           4
        .value_kind:     hidden_block_count_z
      - .offset:         204
        .size:           2
        .value_kind:     hidden_group_size_x
      - .offset:         206
        .size:           2
        .value_kind:     hidden_group_size_y
      - .offset:         208
        .size:           2
        .value_kind:     hidden_group_size_z
      - .offset:         210
        .size:           2
        .value_kind:     hidden_remainder_x
      - .offset:         212
        .size:           2
        .value_kind:     hidden_remainder_y
      - .offset:         214
        .size:           2
        .value_kind:     hidden_remainder_z
      - .offset:         232
        .size:           8
        .value_kind:     hidden_global_offset_x
      - .offset:         240
        .size:           8
        .value_kind:     hidden_global_offset_y
      - .offset:         248
        .size:           8
        .value_kind:     hidden_global_offset_z
      - .offset:         256
        .size:           2
        .value_kind:     hidden_grid_dims
    .group_segment_fixed_size: 0
    .kernarg_segment_align: 8
    .kernarg_segment_size: 448
    .language:       OpenCL C
    .language_version:
      - 2
      - 0
    .max_flat_workgroup_size: 1024
    .name:           _ZL11k_bin_bcastIXadL_ZL6op_mulffEEfffJPKfS1_S1_S1_S1_S1_EEvPKT0_PKT1_PT2_iii15HIP_vector_typeIjLj3EESB_SB_SB_SB_iiiiiiiiiiiDpT3_
    .private_segment_fixed_size: 0
    .sgpr_count:     42
    .sgpr_spill_count: 0
    .symbol:         _ZL11k_bin_bcastIXadL_ZL6op_mulffEEfffJPKfS1_S1_S1_S1_S1_EEvPKT0_PKT1_PT2_iii15HIP_vector_typeIjLj3EESB_SB_SB_SB_iiiiiiiiiiiDpT3_.kd
    .uniform_work_group_size: 1
    .uses_dynamic_stack: false
    .vgpr_count:     17
    .vgpr_spill_count: 0
    .wavefront_size: 32
    .workgroup_processor_mode: 1
  - .args:
      - .address_space:  global
        .offset:         0
        .size:           8
        .value_kind:     global_buffer
      - .address_space:  global
        .offset:         8
        .size:           8
        .value_kind:     global_buffer
      - .address_space:  global
        .offset:         16
        .size:           8
        .value_kind:     global_buffer
      - .offset:         24
        .size:           12
        .value_kind:     by_value
      - .offset:         36
        .size:           12
        .value_kind:     by_value
      - .offset:         48
        .size:           12
        .value_kind:     by_value
      - .offset:         60
        .size:           4
        .value_kind:     by_value
      - .offset:         64
        .size:           12
        .value_kind:     by_value
      - .offset:         76
        .size:           12
        .value_kind:     by_value
      - .offset:         88
        .size:           12
        .value_kind:     by_value
      - .offset:         100
        .size:           12
        .value_kind:     by_value
      - .offset:         112
        .size:           12
        .value_kind:     by_value
      - .offset:         124
        .size:           12
        .value_kind:     by_value
      - .offset:         136
        .size:           4
        .value_kind:     by_value
      - .offset:         140
        .size:           4
        .value_kind:     by_value
      - .offset:         144
        .size:           4
        .value_kind:     by_value
      - .offset:         148
        .size:           4
        .value_kind:     by_value
      - .offset:         152
        .size:           4
        .value_kind:     by_value
      - .offset:         156
        .size:           4
        .value_kind:     by_value
      - .offset:         160
        .size:           4
        .value_kind:     by_value
      - .offset:         164
        .size:           4
        .value_kind:     by_value
      - .offset:         168
        .size:           4
        .value_kind:     by_value
      - .offset:         172
        .size:           4
        .value_kind:     by_value
      - .offset:         176
        .size:           4
        .value_kind:     by_value
      - .address_space:  global
        .offset:         184
        .size:           8
        .value_kind:     global_buffer
      - .address_space:  global
        .offset:         192
        .size:           8
        .value_kind:     global_buffer
      - .address_space:  global
        .offset:         200
        .size:           8
        .value_kind:     global_buffer
      - .address_space:  global
        .offset:         208
        .size:           8
        .value_kind:     global_buffer
      - .address_space:  global
        .offset:         216
        .size:           8
        .value_kind:     global_buffer
      - .address_space:  global
        .offset:         224
        .size:           8
        .value_kind:     global_buffer
      - .offset:         232
        .size:           4
        .value_kind:     hidden_block_count_x
      - .offset:         236
        .size:           4
        .value_kind:     hidden_block_count_y
      - .offset:         240
        .size:           4
        .value_kind:     hidden_block_count_z
      - .offset:         244
        .size:           2
        .value_kind:     hidden_group_size_x
      - .offset:         246
        .size:           2
        .value_kind:     hidden_group_size_y
      - .offset:         248
        .size:           2
        .value_kind:     hidden_group_size_z
      - .offset:         250
        .size:           2
        .value_kind:     hidden_remainder_x
      - .offset:         252
        .size:           2
        .value_kind:     hidden_remainder_y
      - .offset:         254
        .size:           2
        .value_kind:     hidden_remainder_z
      - .offset:         272
        .size:           8
        .value_kind:     hidden_global_offset_x
      - .offset:         280
        .size:           8
        .value_kind:     hidden_global_offset_y
      - .offset:         288
        .size:           8
        .value_kind:     hidden_global_offset_z
      - .offset:         296
        .size:           2
        .value_kind:     hidden_grid_dims
    .group_segment_fixed_size: 0
    .kernarg_segment_align: 8
    .kernarg_segment_size: 488
    .language:       OpenCL C
    .language_version:
      - 2
      - 0
    .max_flat_workgroup_size: 1024
    .name:           _ZL19k_bin_bcast_unravelIXadL_ZL6op_mulffEE6__halfS0_S0_JPKS0_S2_S2_S2_S2_S2_EEvPKT0_PKT1_PT2_15HIP_vector_typeIjLj3EESC_SC_jSC_SC_SC_SC_SC_SC_iiiiiiiiiiiDpT3_
    .private_segment_fixed_size: 0
    .sgpr_count:     30
    .sgpr_spill_count: 0
    .symbol:         _ZL19k_bin_bcast_unravelIXadL_ZL6op_mulffEE6__halfS0_S0_JPKS0_S2_S2_S2_S2_S2_EEvPKT0_PKT1_PT2_15HIP_vector_typeIjLj3EESC_SC_jSC_SC_SC_SC_SC_SC_iiiiiiiiiiiDpT3_.kd
    .uniform_work_group_size: 1
    .uses_dynamic_stack: false
    .vgpr_count:     14
    .vgpr_spill_count: 0
    .wavefront_size: 32
    .workgroup_processor_mode: 1
  - .args:
      - .address_space:  global
        .offset:         0
        .size:           8
        .value_kind:     global_buffer
      - .address_space:  global
        .offset:         8
        .size:           8
        .value_kind:     global_buffer
      - .address_space:  global
        .offset:         16
        .size:           8
        .value_kind:     global_buffer
      - .offset:         24
        .size:           4
        .value_kind:     by_value
      - .offset:         28
        .size:           4
        .value_kind:     by_value
      - .offset:         32
        .size:           4
        .value_kind:     by_value
      - .offset:         36
        .size:           12
        .value_kind:     by_value
      - .offset:         48
        .size:           12
        .value_kind:     by_value
      - .offset:         60
        .size:           12
        .value_kind:     by_value
      - .offset:         72
        .size:           12
        .value_kind:     by_value
      - .offset:         84
        .size:           12
        .value_kind:     by_value
      - .offset:         96
        .size:           4
        .value_kind:     by_value
      - .offset:         100
        .size:           4
        .value_kind:     by_value
      - .offset:         104
        .size:           4
        .value_kind:     by_value
      - .offset:         108
        .size:           4
        .value_kind:     by_value
      - .offset:         112
        .size:           4
        .value_kind:     by_value
      - .offset:         116
        .size:           4
        .value_kind:     by_value
      - .offset:         120
        .size:           4
        .value_kind:     by_value
      - .offset:         124
        .size:           4
        .value_kind:     by_value
      - .offset:         128
        .size:           4
        .value_kind:     by_value
      - .offset:         132
        .size:           4
        .value_kind:     by_value
      - .offset:         136
        .size:           4
        .value_kind:     by_value
      - .address_space:  global
        .offset:         144
        .size:           8
        .value_kind:     global_buffer
      - .address_space:  global
        .offset:         152
        .size:           8
        .value_kind:     global_buffer
      - .address_space:  global
        .offset:         160
        .size:           8
        .value_kind:     global_buffer
      - .address_space:  global
        .offset:         168
        .size:           8
        .value_kind:     global_buffer
      - .address_space:  global
        .offset:         176
        .size:           8
        .value_kind:     global_buffer
      - .address_space:  global
        .offset:         184
        .size:           8
        .value_kind:     global_buffer
      - .offset:         192
        .size:           4
        .value_kind:     hidden_block_count_x
      - .offset:         196
        .size:           4
        .value_kind:     hidden_block_count_y
      - .offset:         200
        .size:           4
        .value_kind:     hidden_block_count_z
      - .offset:         204
        .size:           2
        .value_kind:     hidden_group_size_x
      - .offset:         206
        .size:           2
        .value_kind:     hidden_group_size_y
      - .offset:         208
        .size:           2
        .value_kind:     hidden_group_size_z
      - .offset:         210
        .size:           2
        .value_kind:     hidden_remainder_x
      - .offset:         212
        .size:           2
        .value_kind:     hidden_remainder_y
      - .offset:         214
        .size:           2
        .value_kind:     hidden_remainder_z
      - .offset:         232
        .size:           8
        .value_kind:     hidden_global_offset_x
      - .offset:         240
        .size:           8
        .value_kind:     hidden_global_offset_y
      - .offset:         248
        .size:           8
        .value_kind:     hidden_global_offset_z
      - .offset:         256
        .size:           2
        .value_kind:     hidden_grid_dims
    .group_segment_fixed_size: 0
    .kernarg_segment_align: 8
    .kernarg_segment_size: 448
    .language:       OpenCL C
    .language_version:
      - 2
      - 0
    .max_flat_workgroup_size: 1024
    .name:           _ZL11k_bin_bcastIXadL_ZL6op_mulffEE6__halfS0_S0_JPKS0_S2_S2_S2_S2_S2_EEvPKT0_PKT1_PT2_iii15HIP_vector_typeIjLj3EESC_SC_SC_SC_iiiiiiiiiiiDpT3_
    .private_segment_fixed_size: 0
    .sgpr_count:     42
    .sgpr_spill_count: 0
    .symbol:         _ZL11k_bin_bcastIXadL_ZL6op_mulffEE6__halfS0_S0_JPKS0_S2_S2_S2_S2_S2_EEvPKT0_PKT1_PT2_iii15HIP_vector_typeIjLj3EESC_SC_SC_SC_iiiiiiiiiiiDpT3_.kd
    .uniform_work_group_size: 1
    .uses_dynamic_stack: false
    .vgpr_count:     17
    .vgpr_spill_count: 0
    .wavefront_size: 32
    .workgroup_processor_mode: 1
  - .args:
      - .address_space:  global
        .offset:         0
        .size:           8
        .value_kind:     global_buffer
      - .address_space:  global
        .offset:         8
        .size:           8
        .value_kind:     global_buffer
      - .address_space:  global
        .offset:         16
        .size:           8
        .value_kind:     global_buffer
      - .offset:         24
        .size:           12
        .value_kind:     by_value
      - .offset:         36
        .size:           12
        .value_kind:     by_value
      - .offset:         48
        .size:           12
        .value_kind:     by_value
      - .offset:         60
        .size:           4
        .value_kind:     by_value
      - .offset:         64
        .size:           12
        .value_kind:     by_value
      - .offset:         76
        .size:           12
        .value_kind:     by_value
      - .offset:         88
        .size:           12
        .value_kind:     by_value
      - .offset:         100
        .size:           12
        .value_kind:     by_value
      - .offset:         112
        .size:           12
        .value_kind:     by_value
      - .offset:         124
        .size:           12
        .value_kind:     by_value
      - .offset:         136
        .size:           4
        .value_kind:     by_value
      - .offset:         140
        .size:           4
        .value_kind:     by_value
      - .offset:         144
        .size:           4
        .value_kind:     by_value
      - .offset:         148
        .size:           4
        .value_kind:     by_value
      - .offset:         152
        .size:           4
        .value_kind:     by_value
      - .offset:         156
        .size:           4
        .value_kind:     by_value
      - .offset:         160
        .size:           4
        .value_kind:     by_value
      - .offset:         164
        .size:           4
        .value_kind:     by_value
      - .offset:         168
        .size:           4
        .value_kind:     by_value
      - .offset:         172
        .size:           4
        .value_kind:     by_value
      - .offset:         176
        .size:           4
        .value_kind:     by_value
      - .address_space:  global
        .offset:         184
        .size:           8
        .value_kind:     global_buffer
      - .address_space:  global
        .offset:         192
        .size:           8
        .value_kind:     global_buffer
      - .address_space:  global
        .offset:         200
        .size:           8
        .value_kind:     global_buffer
      - .address_space:  global
        .offset:         208
        .size:           8
        .value_kind:     global_buffer
      - .address_space:  global
        .offset:         216
        .size:           8
        .value_kind:     global_buffer
      - .address_space:  global
        .offset:         224
        .size:           8
        .value_kind:     global_buffer
      - .offset:         232
        .size:           4
        .value_kind:     hidden_block_count_x
      - .offset:         236
        .size:           4
        .value_kind:     hidden_block_count_y
      - .offset:         240
        .size:           4
        .value_kind:     hidden_block_count_z
      - .offset:         244
        .size:           2
        .value_kind:     hidden_group_size_x
      - .offset:         246
        .size:           2
        .value_kind:     hidden_group_size_y
      - .offset:         248
        .size:           2
        .value_kind:     hidden_group_size_z
      - .offset:         250
        .size:           2
        .value_kind:     hidden_remainder_x
      - .offset:         252
        .size:           2
        .value_kind:     hidden_remainder_y
      - .offset:         254
        .size:           2
        .value_kind:     hidden_remainder_z
      - .offset:         272
        .size:           8
        .value_kind:     hidden_global_offset_x
      - .offset:         280
        .size:           8
        .value_kind:     hidden_global_offset_y
      - .offset:         288
        .size:           8
        .value_kind:     hidden_global_offset_z
      - .offset:         296
        .size:           2
        .value_kind:     hidden_grid_dims
    .group_segment_fixed_size: 0
    .kernarg_segment_align: 8
    .kernarg_segment_size: 488
    .language:       OpenCL C
    .language_version:
      - 2
      - 0
    .max_flat_workgroup_size: 1024
    .name:           _ZL19k_bin_bcast_unravelIXadL_ZL6op_mulffEE6__halffS0_JPKfS2_S2_S2_S2_S2_EEvPKT0_PKT1_PT2_15HIP_vector_typeIjLj3EESC_SC_jSC_SC_SC_SC_SC_SC_iiiiiiiiiiiDpT3_
    .private_segment_fixed_size: 0
    .sgpr_count:     30
    .sgpr_spill_count: 0
    .symbol:         _ZL19k_bin_bcast_unravelIXadL_ZL6op_mulffEE6__halffS0_JPKfS2_S2_S2_S2_S2_EEvPKT0_PKT1_PT2_15HIP_vector_typeIjLj3EESC_SC_jSC_SC_SC_SC_SC_SC_iiiiiiiiiiiDpT3_.kd
    .uniform_work_group_size: 1
    .uses_dynamic_stack: false
    .vgpr_count:     14
    .vgpr_spill_count: 0
    .wavefront_size: 32
    .workgroup_processor_mode: 1
  - .args:
      - .address_space:  global
        .offset:         0
        .size:           8
        .value_kind:     global_buffer
      - .address_space:  global
        .offset:         8
        .size:           8
        .value_kind:     global_buffer
      - .address_space:  global
        .offset:         16
        .size:           8
        .value_kind:     global_buffer
      - .offset:         24
        .size:           4
        .value_kind:     by_value
      - .offset:         28
        .size:           4
        .value_kind:     by_value
      - .offset:         32
        .size:           4
        .value_kind:     by_value
      - .offset:         36
        .size:           12
        .value_kind:     by_value
      - .offset:         48
        .size:           12
        .value_kind:     by_value
      - .offset:         60
        .size:           12
        .value_kind:     by_value
      - .offset:         72
        .size:           12
        .value_kind:     by_value
      - .offset:         84
        .size:           12
        .value_kind:     by_value
      - .offset:         96
        .size:           4
        .value_kind:     by_value
      - .offset:         100
        .size:           4
        .value_kind:     by_value
      - .offset:         104
        .size:           4
        .value_kind:     by_value
      - .offset:         108
        .size:           4
        .value_kind:     by_value
      - .offset:         112
        .size:           4
        .value_kind:     by_value
      - .offset:         116
        .size:           4
        .value_kind:     by_value
      - .offset:         120
        .size:           4
        .value_kind:     by_value
      - .offset:         124
        .size:           4
        .value_kind:     by_value
      - .offset:         128
        .size:           4
        .value_kind:     by_value
      - .offset:         132
        .size:           4
        .value_kind:     by_value
      - .offset:         136
        .size:           4
        .value_kind:     by_value
      - .address_space:  global
        .offset:         144
        .size:           8
        .value_kind:     global_buffer
      - .address_space:  global
        .offset:         152
        .size:           8
        .value_kind:     global_buffer
      - .address_space:  global
        .offset:         160
        .size:           8
        .value_kind:     global_buffer
      - .address_space:  global
        .offset:         168
        .size:           8
        .value_kind:     global_buffer
      - .address_space:  global
        .offset:         176
        .size:           8
        .value_kind:     global_buffer
      - .address_space:  global
        .offset:         184
        .size:           8
        .value_kind:     global_buffer
      - .offset:         192
        .size:           4
        .value_kind:     hidden_block_count_x
      - .offset:         196
        .size:           4
        .value_kind:     hidden_block_count_y
      - .offset:         200
        .size:           4
        .value_kind:     hidden_block_count_z
      - .offset:         204
        .size:           2
        .value_kind:     hidden_group_size_x
      - .offset:         206
        .size:           2
        .value_kind:     hidden_group_size_y
      - .offset:         208
        .size:           2
        .value_kind:     hidden_group_size_z
      - .offset:         210
        .size:           2
        .value_kind:     hidden_remainder_x
      - .offset:         212
        .size:           2
        .value_kind:     hidden_remainder_y
      - .offset:         214
        .size:           2
        .value_kind:     hidden_remainder_z
      - .offset:         232
        .size:           8
        .value_kind:     hidden_global_offset_x
      - .offset:         240
        .size:           8
        .value_kind:     hidden_global_offset_y
      - .offset:         248
        .size:           8
        .value_kind:     hidden_global_offset_z
      - .offset:         256
        .size:           2
        .value_kind:     hidden_grid_dims
    .group_segment_fixed_size: 0
    .kernarg_segment_align: 8
    .kernarg_segment_size: 448
    .language:       OpenCL C
    .language_version:
      - 2
      - 0
    .max_flat_workgroup_size: 1024
    .name:           _ZL11k_bin_bcastIXadL_ZL6op_mulffEE6__halffS0_JPKfS2_S2_S2_S2_S2_EEvPKT0_PKT1_PT2_iii15HIP_vector_typeIjLj3EESC_SC_SC_SC_iiiiiiiiiiiDpT3_
    .private_segment_fixed_size: 0
    .sgpr_count:     42
    .sgpr_spill_count: 0
    .symbol:         _ZL11k_bin_bcastIXadL_ZL6op_mulffEE6__halffS0_JPKfS2_S2_S2_S2_S2_EEvPKT0_PKT1_PT2_iii15HIP_vector_typeIjLj3EESC_SC_SC_SC_iiiiiiiiiiiDpT3_.kd
    .uniform_work_group_size: 1
    .uses_dynamic_stack: false
    .vgpr_count:     17
    .vgpr_spill_count: 0
    .wavefront_size: 32
    .workgroup_processor_mode: 1
  - .args:
      - .address_space:  global
        .offset:         0
        .size:           8
        .value_kind:     global_buffer
      - .address_space:  global
        .offset:         8
        .size:           8
        .value_kind:     global_buffer
      - .address_space:  global
        .offset:         16
        .size:           8
        .value_kind:     global_buffer
      - .offset:         24
        .size:           12
        .value_kind:     by_value
      - .offset:         36
        .size:           12
        .value_kind:     by_value
      - .offset:         48
        .size:           12
        .value_kind:     by_value
      - .offset:         60
        .size:           4
        .value_kind:     by_value
      - .offset:         64
        .size:           12
        .value_kind:     by_value
      - .offset:         76
        .size:           12
        .value_kind:     by_value
      - .offset:         88
        .size:           12
        .value_kind:     by_value
      - .offset:         100
        .size:           12
        .value_kind:     by_value
      - .offset:         112
        .size:           12
        .value_kind:     by_value
      - .offset:         124
        .size:           12
        .value_kind:     by_value
      - .offset:         136
        .size:           4
        .value_kind:     by_value
      - .offset:         140
        .size:           4
        .value_kind:     by_value
      - .offset:         144
        .size:           4
        .value_kind:     by_value
      - .offset:         148
        .size:           4
        .value_kind:     by_value
      - .offset:         152
        .size:           4
        .value_kind:     by_value
      - .offset:         156
        .size:           4
        .value_kind:     by_value
      - .offset:         160
        .size:           4
        .value_kind:     by_value
      - .offset:         164
        .size:           4
        .value_kind:     by_value
      - .offset:         168
        .size:           4
        .value_kind:     by_value
      - .offset:         172
        .size:           4
        .value_kind:     by_value
      - .offset:         176
        .size:           4
        .value_kind:     by_value
      - .address_space:  global
        .offset:         184
        .size:           8
        .value_kind:     global_buffer
      - .address_space:  global
        .offset:         192
        .size:           8
        .value_kind:     global_buffer
      - .address_space:  global
        .offset:         200
        .size:           8
        .value_kind:     global_buffer
      - .address_space:  global
        .offset:         208
        .size:           8
        .value_kind:     global_buffer
      - .address_space:  global
        .offset:         216
        .size:           8
        .value_kind:     global_buffer
      - .address_space:  global
        .offset:         224
        .size:           8
        .value_kind:     global_buffer
      - .offset:         232
        .size:           4
        .value_kind:     hidden_block_count_x
      - .offset:         236
        .size:           4
        .value_kind:     hidden_block_count_y
      - .offset:         240
        .size:           4
        .value_kind:     hidden_block_count_z
      - .offset:         244
        .size:           2
        .value_kind:     hidden_group_size_x
      - .offset:         246
        .size:           2
        .value_kind:     hidden_group_size_y
      - .offset:         248
        .size:           2
        .value_kind:     hidden_group_size_z
      - .offset:         250
        .size:           2
        .value_kind:     hidden_remainder_x
      - .offset:         252
        .size:           2
        .value_kind:     hidden_remainder_y
      - .offset:         254
        .size:           2
        .value_kind:     hidden_remainder_z
      - .offset:         272
        .size:           8
        .value_kind:     hidden_global_offset_x
      - .offset:         280
        .size:           8
        .value_kind:     hidden_global_offset_y
      - .offset:         288
        .size:           8
        .value_kind:     hidden_global_offset_z
      - .offset:         296
        .size:           2
        .value_kind:     hidden_grid_dims
    .group_segment_fixed_size: 0
    .kernarg_segment_align: 8
    .kernarg_segment_size: 488
    .language:       OpenCL C
    .language_version:
      - 2
      - 0
    .max_flat_workgroup_size: 1024
    .name:           _ZL19k_bin_bcast_unravelIXadL_ZL6op_mulffEE6__halfffJPKfS2_S2_S2_S2_S2_EEvPKT0_PKT1_PT2_15HIP_vector_typeIjLj3EESC_SC_jSC_SC_SC_SC_SC_SC_iiiiiiiiiiiDpT3_
    .private_segment_fixed_size: 0
    .sgpr_count:     30
    .sgpr_spill_count: 0
    .symbol:         _ZL19k_bin_bcast_unravelIXadL_ZL6op_mulffEE6__halfffJPKfS2_S2_S2_S2_S2_EEvPKT0_PKT1_PT2_15HIP_vector_typeIjLj3EESC_SC_jSC_SC_SC_SC_SC_SC_iiiiiiiiiiiDpT3_.kd
    .uniform_work_group_size: 1
    .uses_dynamic_stack: false
    .vgpr_count:     14
    .vgpr_spill_count: 0
    .wavefront_size: 32
    .workgroup_processor_mode: 1
  - .args:
      - .address_space:  global
        .offset:         0
        .size:           8
        .value_kind:     global_buffer
      - .address_space:  global
        .offset:         8
        .size:           8
        .value_kind:     global_buffer
      - .address_space:  global
        .offset:         16
        .size:           8
        .value_kind:     global_buffer
      - .offset:         24
        .size:           4
        .value_kind:     by_value
      - .offset:         28
        .size:           4
        .value_kind:     by_value
      - .offset:         32
        .size:           4
        .value_kind:     by_value
      - .offset:         36
        .size:           12
        .value_kind:     by_value
      - .offset:         48
        .size:           12
        .value_kind:     by_value
      - .offset:         60
        .size:           12
        .value_kind:     by_value
      - .offset:         72
        .size:           12
        .value_kind:     by_value
      - .offset:         84
        .size:           12
        .value_kind:     by_value
      - .offset:         96
        .size:           4
        .value_kind:     by_value
      - .offset:         100
        .size:           4
        .value_kind:     by_value
      - .offset:         104
        .size:           4
        .value_kind:     by_value
      - .offset:         108
        .size:           4
        .value_kind:     by_value
      - .offset:         112
        .size:           4
        .value_kind:     by_value
      - .offset:         116
        .size:           4
        .value_kind:     by_value
      - .offset:         120
        .size:           4
        .value_kind:     by_value
      - .offset:         124
        .size:           4
        .value_kind:     by_value
      - .offset:         128
        .size:           4
        .value_kind:     by_value
      - .offset:         132
        .size:           4
        .value_kind:     by_value
      - .offset:         136
        .size:           4
        .value_kind:     by_value
      - .address_space:  global
        .offset:         144
        .size:           8
        .value_kind:     global_buffer
      - .address_space:  global
        .offset:         152
        .size:           8
        .value_kind:     global_buffer
      - .address_space:  global
        .offset:         160
        .size:           8
        .value_kind:     global_buffer
      - .address_space:  global
        .offset:         168
        .size:           8
        .value_kind:     global_buffer
      - .address_space:  global
        .offset:         176
        .size:           8
        .value_kind:     global_buffer
      - .address_space:  global
        .offset:         184
        .size:           8
        .value_kind:     global_buffer
      - .offset:         192
        .size:           4
        .value_kind:     hidden_block_count_x
      - .offset:         196
        .size:           4
        .value_kind:     hidden_block_count_y
      - .offset:         200
        .size:           4
        .value_kind:     hidden_block_count_z
      - .offset:         204
        .size:           2
        .value_kind:     hidden_group_size_x
      - .offset:         206
        .size:           2
        .value_kind:     hidden_group_size_y
      - .offset:         208
        .size:           2
        .value_kind:     hidden_group_size_z
      - .offset:         210
        .size:           2
        .value_kind:     hidden_remainder_x
      - .offset:         212
        .size:           2
        .value_kind:     hidden_remainder_y
      - .offset:         214
        .size:           2
        .value_kind:     hidden_remainder_z
      - .offset:         232
        .size:           8
        .value_kind:     hidden_global_offset_x
      - .offset:         240
        .size:           8
        .value_kind:     hidden_global_offset_y
      - .offset:         248
        .size:           8
        .value_kind:     hidden_global_offset_z
      - .offset:         256
        .size:           2
        .value_kind:     hidden_grid_dims
    .group_segment_fixed_size: 0
    .kernarg_segment_align: 8
    .kernarg_segment_size: 448
    .language:       OpenCL C
    .language_version:
      - 2
      - 0
    .max_flat_workgroup_size: 1024
    .name:           _ZL11k_bin_bcastIXadL_ZL6op_mulffEE6__halfffJPKfS2_S2_S2_S2_S2_EEvPKT0_PKT1_PT2_iii15HIP_vector_typeIjLj3EESC_SC_SC_SC_iiiiiiiiiiiDpT3_
    .private_segment_fixed_size: 0
    .sgpr_count:     42
    .sgpr_spill_count: 0
    .symbol:         _ZL11k_bin_bcastIXadL_ZL6op_mulffEE6__halfffJPKfS2_S2_S2_S2_S2_EEvPKT0_PKT1_PT2_iii15HIP_vector_typeIjLj3EESC_SC_SC_SC_iiiiiiiiiiiDpT3_.kd
    .uniform_work_group_size: 1
    .uses_dynamic_stack: false
    .vgpr_count:     17
    .vgpr_spill_count: 0
    .wavefront_size: 32
    .workgroup_processor_mode: 1
  - .args:
      - .address_space:  global
        .offset:         0
        .size:           8
        .value_kind:     global_buffer
      - .address_space:  global
        .offset:         8
        .size:           8
        .value_kind:     global_buffer
      - .address_space:  global
        .offset:         16
        .size:           8
        .value_kind:     global_buffer
      - .offset:         24
        .size:           12
        .value_kind:     by_value
      - .offset:         36
        .size:           12
        .value_kind:     by_value
      - .offset:         48
        .size:           12
        .value_kind:     by_value
      - .offset:         60
        .size:           4
        .value_kind:     by_value
      - .offset:         64
        .size:           12
        .value_kind:     by_value
      - .offset:         76
        .size:           12
        .value_kind:     by_value
      - .offset:         88
        .size:           12
        .value_kind:     by_value
      - .offset:         100
        .size:           12
        .value_kind:     by_value
      - .offset:         112
        .size:           12
        .value_kind:     by_value
      - .offset:         124
        .size:           12
        .value_kind:     by_value
      - .offset:         136
        .size:           4
        .value_kind:     by_value
      - .offset:         140
        .size:           4
        .value_kind:     by_value
      - .offset:         144
        .size:           4
        .value_kind:     by_value
      - .offset:         148
        .size:           4
        .value_kind:     by_value
      - .offset:         152
        .size:           4
        .value_kind:     by_value
      - .offset:         156
        .size:           4
        .value_kind:     by_value
      - .offset:         160
        .size:           4
        .value_kind:     by_value
      - .offset:         164
        .size:           4
        .value_kind:     by_value
      - .offset:         168
        .size:           4
        .value_kind:     by_value
      - .offset:         172
        .size:           4
        .value_kind:     by_value
      - .offset:         176
        .size:           4
        .value_kind:     by_value
      - .address_space:  global
        .offset:         184
        .size:           8
        .value_kind:     global_buffer
      - .address_space:  global
        .offset:         192
        .size:           8
        .value_kind:     global_buffer
      - .address_space:  global
        .offset:         200
        .size:           8
        .value_kind:     global_buffer
      - .address_space:  global
        .offset:         208
        .size:           8
        .value_kind:     global_buffer
      - .address_space:  global
        .offset:         216
        .size:           8
        .value_kind:     global_buffer
      - .address_space:  global
        .offset:         224
        .size:           8
        .value_kind:     global_buffer
      - .address_space:  global
        .offset:         232
        .size:           8
        .value_kind:     global_buffer
      - .offset:         240
        .size:           4
        .value_kind:     hidden_block_count_x
      - .offset:         244
        .size:           4
        .value_kind:     hidden_block_count_y
      - .offset:         248
        .size:           4
        .value_kind:     hidden_block_count_z
      - .offset:         252
        .size:           2
        .value_kind:     hidden_group_size_x
      - .offset:         254
        .size:           2
        .value_kind:     hidden_group_size_y
      - .offset:         256
        .size:           2
        .value_kind:     hidden_group_size_z
      - .offset:         258
        .size:           2
        .value_kind:     hidden_remainder_x
      - .offset:         260
        .size:           2
        .value_kind:     hidden_remainder_y
      - .offset:         262
        .size:           2
        .value_kind:     hidden_remainder_z
      - .offset:         280
        .size:           8
        .value_kind:     hidden_global_offset_x
      - .offset:         288
        .size:           8
        .value_kind:     hidden_global_offset_y
      - .offset:         296
        .size:           8
        .value_kind:     hidden_global_offset_z
      - .offset:         304
        .size:           2
        .value_kind:     hidden_grid_dims
    .group_segment_fixed_size: 0
    .kernarg_segment_align: 8
    .kernarg_segment_size: 496
    .language:       OpenCL C
    .language_version:
      - 2
      - 0
    .max_flat_workgroup_size: 1024
    .name:           _ZL19k_bin_bcast_unravelIXadL_ZL6op_mulffEEfffJPKfS1_S1_S1_S1_S1_S1_EEvPKT0_PKT1_PT2_15HIP_vector_typeIjLj3EESB_SB_jSB_SB_SB_SB_SB_SB_iiiiiiiiiiiDpT3_
    .private_segment_fixed_size: 0
    .sgpr_count:     30
    .sgpr_spill_count: 0
    .symbol:         _ZL19k_bin_bcast_unravelIXadL_ZL6op_mulffEEfffJPKfS1_S1_S1_S1_S1_S1_EEvPKT0_PKT1_PT2_15HIP_vector_typeIjLj3EESB_SB_jSB_SB_SB_SB_SB_SB_iiiiiiiiiiiDpT3_.kd
    .uniform_work_group_size: 1
    .uses_dynamic_stack: false
    .vgpr_count:     15
    .vgpr_spill_count: 0
    .wavefront_size: 32
    .workgroup_processor_mode: 1
  - .args:
      - .address_space:  global
        .offset:         0
        .size:           8
        .value_kind:     global_buffer
      - .address_space:  global
        .offset:         8
        .size:           8
        .value_kind:     global_buffer
      - .address_space:  global
        .offset:         16
        .size:           8
        .value_kind:     global_buffer
      - .offset:         24
        .size:           4
        .value_kind:     by_value
      - .offset:         28
        .size:           4
        .value_kind:     by_value
      - .offset:         32
        .size:           4
        .value_kind:     by_value
      - .offset:         36
        .size:           12
        .value_kind:     by_value
      - .offset:         48
        .size:           12
        .value_kind:     by_value
      - .offset:         60
        .size:           12
        .value_kind:     by_value
      - .offset:         72
        .size:           12
        .value_kind:     by_value
      - .offset:         84
        .size:           12
        .value_kind:     by_value
      - .offset:         96
        .size:           4
        .value_kind:     by_value
      - .offset:         100
        .size:           4
        .value_kind:     by_value
      - .offset:         104
        .size:           4
        .value_kind:     by_value
      - .offset:         108
        .size:           4
        .value_kind:     by_value
      - .offset:         112
        .size:           4
        .value_kind:     by_value
      - .offset:         116
        .size:           4
        .value_kind:     by_value
      - .offset:         120
        .size:           4
        .value_kind:     by_value
      - .offset:         124
        .size:           4
        .value_kind:     by_value
      - .offset:         128
        .size:           4
        .value_kind:     by_value
      - .offset:         132
        .size:           4
        .value_kind:     by_value
      - .offset:         136
        .size:           4
        .value_kind:     by_value
      - .address_space:  global
        .offset:         144
        .size:           8
        .value_kind:     global_buffer
      - .address_space:  global
        .offset:         152
        .size:           8
        .value_kind:     global_buffer
      - .address_space:  global
        .offset:         160
        .size:           8
        .value_kind:     global_buffer
      - .address_space:  global
        .offset:         168
        .size:           8
        .value_kind:     global_buffer
      - .address_space:  global
        .offset:         176
        .size:           8
        .value_kind:     global_buffer
      - .address_space:  global
        .offset:         184
        .size:           8
        .value_kind:     global_buffer
      - .address_space:  global
        .offset:         192
        .size:           8
        .value_kind:     global_buffer
      - .offset:         200
        .size:           4
        .value_kind:     hidden_block_count_x
      - .offset:         204
        .size:           4
        .value_kind:     hidden_block_count_y
      - .offset:         208
        .size:           4
        .value_kind:     hidden_block_count_z
      - .offset:         212
        .size:           2
        .value_kind:     hidden_group_size_x
      - .offset:         214
        .size:           2
        .value_kind:     hidden_group_size_y
      - .offset:         216
        .size:           2
        .value_kind:     hidden_group_size_z
      - .offset:         218
        .size:           2
        .value_kind:     hidden_remainder_x
      - .offset:         220
        .size:           2
        .value_kind:     hidden_remainder_y
      - .offset:         222
        .size:           2
        .value_kind:     hidden_remainder_z
      - .offset:         240
        .size:           8
        .value_kind:     hidden_global_offset_x
      - .offset:         248
        .size:           8
        .value_kind:     hidden_global_offset_y
      - .offset:         256
        .size:           8
        .value_kind:     hidden_global_offset_z
      - .offset:         264
        .size:           2
        .value_kind:     hidden_grid_dims
    .group_segment_fixed_size: 0
    .kernarg_segment_align: 8
    .kernarg_segment_size: 456
    .language:       OpenCL C
    .language_version:
      - 2
      - 0
    .max_flat_workgroup_size: 1024
    .name:           _ZL11k_bin_bcastIXadL_ZL6op_mulffEEfffJPKfS1_S1_S1_S1_S1_S1_EEvPKT0_PKT1_PT2_iii15HIP_vector_typeIjLj3EESB_SB_SB_SB_iiiiiiiiiiiDpT3_
    .private_segment_fixed_size: 0
    .sgpr_count:     46
    .sgpr_spill_count: 0
    .symbol:         _ZL11k_bin_bcastIXadL_ZL6op_mulffEEfffJPKfS1_S1_S1_S1_S1_S1_EEvPKT0_PKT1_PT2_iii15HIP_vector_typeIjLj3EESB_SB_SB_SB_iiiiiiiiiiiDpT3_.kd
    .uniform_work_group_size: 1
    .uses_dynamic_stack: false
    .vgpr_count:     18
    .vgpr_spill_count: 0
    .wavefront_size: 32
    .workgroup_processor_mode: 1
  - .args:
      - .address_space:  global
        .offset:         0
        .size:           8
        .value_kind:     global_buffer
      - .address_space:  global
        .offset:         8
        .size:           8
        .value_kind:     global_buffer
      - .address_space:  global
        .offset:         16
        .size:           8
        .value_kind:     global_buffer
      - .offset:         24
        .size:           12
        .value_kind:     by_value
      - .offset:         36
        .size:           12
        .value_kind:     by_value
      - .offset:         48
        .size:           12
        .value_kind:     by_value
      - .offset:         60
        .size:           4
        .value_kind:     by_value
      - .offset:         64
        .size:           12
        .value_kind:     by_value
      - .offset:         76
        .size:           12
        .value_kind:     by_value
      - .offset:         88
        .size:           12
        .value_kind:     by_value
      - .offset:         100
        .size:           12
        .value_kind:     by_value
      - .offset:         112
        .size:           12
        .value_kind:     by_value
      - .offset:         124
        .size:           12
        .value_kind:     by_value
      - .offset:         136
        .size:           4
        .value_kind:     by_value
      - .offset:         140
        .size:           4
        .value_kind:     by_value
      - .offset:         144
        .size:           4
        .value_kind:     by_value
      - .offset:         148
        .size:           4
        .value_kind:     by_value
      - .offset:         152
        .size:           4
        .value_kind:     by_value
      - .offset:         156
        .size:           4
        .value_kind:     by_value
      - .offset:         160
        .size:           4
        .value_kind:     by_value
      - .offset:         164
        .size:           4
        .value_kind:     by_value
      - .offset:         168
        .size:           4
        .value_kind:     by_value
      - .offset:         172
        .size:           4
        .value_kind:     by_value
      - .offset:         176
        .size:           4
        .value_kind:     by_value
      - .address_space:  global
        .offset:         184
        .size:           8
        .value_kind:     global_buffer
      - .address_space:  global
        .offset:         192
        .size:           8
        .value_kind:     global_buffer
      - .address_space:  global
        .offset:         200
        .size:           8
        .value_kind:     global_buffer
      - .address_space:  global
        .offset:         208
        .size:           8
        .value_kind:     global_buffer
      - .address_space:  global
        .offset:         216
        .size:           8
        .value_kind:     global_buffer
      - .address_space:  global
        .offset:         224
        .size:           8
        .value_kind:     global_buffer
      - .address_space:  global
        .offset:         232
        .size:           8
        .value_kind:     global_buffer
      - .offset:         240
        .size:           4
        .value_kind:     hidden_block_count_x
      - .offset:         244
        .size:           4
        .value_kind:     hidden_block_count_y
      - .offset:         248
        .size:           4
        .value_kind:     hidden_block_count_z
      - .offset:         252
        .size:           2
        .value_kind:     hidden_group_size_x
      - .offset:         254
        .size:           2
        .value_kind:     hidden_group_size_y
      - .offset:         256
        .size:           2
        .value_kind:     hidden_group_size_z
      - .offset:         258
        .size:           2
        .value_kind:     hidden_remainder_x
      - .offset:         260
        .size:           2
        .value_kind:     hidden_remainder_y
      - .offset:         262
        .size:           2
        .value_kind:     hidden_remainder_z
      - .offset:         280
        .size:           8
        .value_kind:     hidden_global_offset_x
      - .offset:         288
        .size:           8
        .value_kind:     hidden_global_offset_y
      - .offset:         296
        .size:           8
        .value_kind:     hidden_global_offset_z
      - .offset:         304
        .size:           2
        .value_kind:     hidden_grid_dims
    .group_segment_fixed_size: 0
    .kernarg_segment_align: 8
    .kernarg_segment_size: 496
    .language:       OpenCL C
    .language_version:
      - 2
      - 0
    .max_flat_workgroup_size: 1024
    .name:           _ZL19k_bin_bcast_unravelIXadL_ZL6op_mulffEE6__halfS0_S0_JPKS0_S2_S2_S2_S2_S2_S2_EEvPKT0_PKT1_PT2_15HIP_vector_typeIjLj3EESC_SC_jSC_SC_SC_SC_SC_SC_iiiiiiiiiiiDpT3_
    .private_segment_fixed_size: 0
    .sgpr_count:     30
    .sgpr_spill_count: 0
    .symbol:         _ZL19k_bin_bcast_unravelIXadL_ZL6op_mulffEE6__halfS0_S0_JPKS0_S2_S2_S2_S2_S2_S2_EEvPKT0_PKT1_PT2_15HIP_vector_typeIjLj3EESC_SC_jSC_SC_SC_SC_SC_SC_iiiiiiiiiiiDpT3_.kd
    .uniform_work_group_size: 1
    .uses_dynamic_stack: false
    .vgpr_count:     15
    .vgpr_spill_count: 0
    .wavefront_size: 32
    .workgroup_processor_mode: 1
  - .args:
      - .address_space:  global
        .offset:         0
        .size:           8
        .value_kind:     global_buffer
      - .address_space:  global
        .offset:         8
        .size:           8
        .value_kind:     global_buffer
      - .address_space:  global
        .offset:         16
        .size:           8
        .value_kind:     global_buffer
      - .offset:         24
        .size:           4
        .value_kind:     by_value
      - .offset:         28
        .size:           4
        .value_kind:     by_value
      - .offset:         32
        .size:           4
        .value_kind:     by_value
      - .offset:         36
        .size:           12
        .value_kind:     by_value
      - .offset:         48
        .size:           12
        .value_kind:     by_value
      - .offset:         60
        .size:           12
        .value_kind:     by_value
      - .offset:         72
        .size:           12
        .value_kind:     by_value
      - .offset:         84
        .size:           12
        .value_kind:     by_value
      - .offset:         96
        .size:           4
        .value_kind:     by_value
      - .offset:         100
        .size:           4
        .value_kind:     by_value
      - .offset:         104
        .size:           4
        .value_kind:     by_value
      - .offset:         108
        .size:           4
        .value_kind:     by_value
      - .offset:         112
        .size:           4
        .value_kind:     by_value
      - .offset:         116
        .size:           4
        .value_kind:     by_value
      - .offset:         120
        .size:           4
        .value_kind:     by_value
      - .offset:         124
        .size:           4
        .value_kind:     by_value
      - .offset:         128
        .size:           4
        .value_kind:     by_value
      - .offset:         132
        .size:           4
        .value_kind:     by_value
      - .offset:         136
        .size:           4
        .value_kind:     by_value
      - .address_space:  global
        .offset:         144
        .size:           8
        .value_kind:     global_buffer
      - .address_space:  global
        .offset:         152
        .size:           8
        .value_kind:     global_buffer
      - .address_space:  global
        .offset:         160
        .size:           8
        .value_kind:     global_buffer
      - .address_space:  global
        .offset:         168
        .size:           8
        .value_kind:     global_buffer
      - .address_space:  global
        .offset:         176
        .size:           8
        .value_kind:     global_buffer
      - .address_space:  global
        .offset:         184
        .size:           8
        .value_kind:     global_buffer
      - .address_space:  global
        .offset:         192
        .size:           8
        .value_kind:     global_buffer
      - .offset:         200
        .size:           4
        .value_kind:     hidden_block_count_x
      - .offset:         204
        .size:           4
        .value_kind:     hidden_block_count_y
      - .offset:         208
        .size:           4
        .value_kind:     hidden_block_count_z
      - .offset:         212
        .size:           2
        .value_kind:     hidden_group_size_x
      - .offset:         214
        .size:           2
        .value_kind:     hidden_group_size_y
      - .offset:         216
        .size:           2
        .value_kind:     hidden_group_size_z
      - .offset:         218
        .size:           2
        .value_kind:     hidden_remainder_x
      - .offset:         220
        .size:           2
        .value_kind:     hidden_remainder_y
      - .offset:         222
        .size:           2
        .value_kind:     hidden_remainder_z
      - .offset:         240
        .size:           8
        .value_kind:     hidden_global_offset_x
      - .offset:         248
        .size:           8
        .value_kind:     hidden_global_offset_y
      - .offset:         256
        .size:           8
        .value_kind:     hidden_global_offset_z
      - .offset:         264
        .size:           2
        .value_kind:     hidden_grid_dims
    .group_segment_fixed_size: 0
    .kernarg_segment_align: 8
    .kernarg_segment_size: 456
    .language:       OpenCL C
    .language_version:
      - 2
      - 0
    .max_flat_workgroup_size: 1024
    .name:           _ZL11k_bin_bcastIXadL_ZL6op_mulffEE6__halfS0_S0_JPKS0_S2_S2_S2_S2_S2_S2_EEvPKT0_PKT1_PT2_iii15HIP_vector_typeIjLj3EESC_SC_SC_SC_iiiiiiiiiiiDpT3_
    .private_segment_fixed_size: 0
    .sgpr_count:     46
    .sgpr_spill_count: 0
    .symbol:         _ZL11k_bin_bcastIXadL_ZL6op_mulffEE6__halfS0_S0_JPKS0_S2_S2_S2_S2_S2_S2_EEvPKT0_PKT1_PT2_iii15HIP_vector_typeIjLj3EESC_SC_SC_SC_iiiiiiiiiiiDpT3_.kd
    .uniform_work_group_size: 1
    .uses_dynamic_stack: false
    .vgpr_count:     18
    .vgpr_spill_count: 0
    .wavefront_size: 32
    .workgroup_processor_mode: 1
  - .args:
      - .address_space:  global
        .offset:         0
        .size:           8
        .value_kind:     global_buffer
      - .address_space:  global
        .offset:         8
        .size:           8
        .value_kind:     global_buffer
      - .address_space:  global
        .offset:         16
        .size:           8
        .value_kind:     global_buffer
      - .offset:         24
        .size:           12
        .value_kind:     by_value
      - .offset:         36
        .size:           12
        .value_kind:     by_value
      - .offset:         48
        .size:           12
        .value_kind:     by_value
      - .offset:         60
        .size:           4
        .value_kind:     by_value
      - .offset:         64
        .size:           12
        .value_kind:     by_value
      - .offset:         76
        .size:           12
        .value_kind:     by_value
      - .offset:         88
        .size:           12
        .value_kind:     by_value
      - .offset:         100
        .size:           12
        .value_kind:     by_value
      - .offset:         112
        .size:           12
        .value_kind:     by_value
      - .offset:         124
        .size:           12
        .value_kind:     by_value
      - .offset:         136
        .size:           4
        .value_kind:     by_value
      - .offset:         140
        .size:           4
        .value_kind:     by_value
      - .offset:         144
        .size:           4
        .value_kind:     by_value
      - .offset:         148
        .size:           4
        .value_kind:     by_value
      - .offset:         152
        .size:           4
        .value_kind:     by_value
      - .offset:         156
        .size:           4
        .value_kind:     by_value
      - .offset:         160
        .size:           4
        .value_kind:     by_value
      - .offset:         164
        .size:           4
        .value_kind:     by_value
      - .offset:         168
        .size:           4
        .value_kind:     by_value
      - .offset:         172
        .size:           4
        .value_kind:     by_value
      - .offset:         176
        .size:           4
        .value_kind:     by_value
      - .address_space:  global
        .offset:         184
        .size:           8
        .value_kind:     global_buffer
      - .address_space:  global
        .offset:         192
        .size:           8
        .value_kind:     global_buffer
      - .address_space:  global
        .offset:         200
        .size:           8
        .value_kind:     global_buffer
      - .address_space:  global
        .offset:         208
        .size:           8
        .value_kind:     global_buffer
      - .address_space:  global
        .offset:         216
        .size:           8
        .value_kind:     global_buffer
      - .address_space:  global
        .offset:         224
        .size:           8
        .value_kind:     global_buffer
      - .address_space:  global
        .offset:         232
        .size:           8
        .value_kind:     global_buffer
      - .offset:         240
        .size:           4
        .value_kind:     hidden_block_count_x
      - .offset:         244
        .size:           4
        .value_kind:     hidden_block_count_y
      - .offset:         248
        .size:           4
        .value_kind:     hidden_block_count_z
      - .offset:         252
        .size:           2
        .value_kind:     hidden_group_size_x
      - .offset:         254
        .size:           2
        .value_kind:     hidden_group_size_y
      - .offset:         256
        .size:           2
        .value_kind:     hidden_group_size_z
      - .offset:         258
        .size:           2
        .value_kind:     hidden_remainder_x
      - .offset:         260
        .size:           2
        .value_kind:     hidden_remainder_y
      - .offset:         262
        .size:           2
        .value_kind:     hidden_remainder_z
      - .offset:         280
        .size:           8
        .value_kind:     hidden_global_offset_x
      - .offset:         288
        .size:           8
        .value_kind:     hidden_global_offset_y
      - .offset:         296
        .size:           8
        .value_kind:     hidden_global_offset_z
      - .offset:         304
        .size:           2
        .value_kind:     hidden_grid_dims
    .group_segment_fixed_size: 0
    .kernarg_segment_align: 8
    .kernarg_segment_size: 496
    .language:       OpenCL C
    .language_version:
      - 2
      - 0
    .max_flat_workgroup_size: 1024
    .name:           _ZL19k_bin_bcast_unravelIXadL_ZL6op_mulffEE6__halffS0_JPKfS2_S2_S2_S2_S2_S2_EEvPKT0_PKT1_PT2_15HIP_vector_typeIjLj3EESC_SC_jSC_SC_SC_SC_SC_SC_iiiiiiiiiiiDpT3_
    .private_segment_fixed_size: 0
    .sgpr_count:     30
    .sgpr_spill_count: 0
    .symbol:         _ZL19k_bin_bcast_unravelIXadL_ZL6op_mulffEE6__halffS0_JPKfS2_S2_S2_S2_S2_S2_EEvPKT0_PKT1_PT2_15HIP_vector_typeIjLj3EESC_SC_jSC_SC_SC_SC_SC_SC_iiiiiiiiiiiDpT3_.kd
    .uniform_work_group_size: 1
    .uses_dynamic_stack: false
    .vgpr_count:     15
    .vgpr_spill_count: 0
    .wavefront_size: 32
    .workgroup_processor_mode: 1
  - .args:
      - .address_space:  global
        .offset:         0
        .size:           8
        .value_kind:     global_buffer
      - .address_space:  global
        .offset:         8
        .size:           8
        .value_kind:     global_buffer
      - .address_space:  global
        .offset:         16
        .size:           8
        .value_kind:     global_buffer
      - .offset:         24
        .size:           4
        .value_kind:     by_value
      - .offset:         28
        .size:           4
        .value_kind:     by_value
      - .offset:         32
        .size:           4
        .value_kind:     by_value
      - .offset:         36
        .size:           12
        .value_kind:     by_value
      - .offset:         48
        .size:           12
        .value_kind:     by_value
      - .offset:         60
        .size:           12
        .value_kind:     by_value
      - .offset:         72
        .size:           12
        .value_kind:     by_value
      - .offset:         84
        .size:           12
        .value_kind:     by_value
      - .offset:         96
        .size:           4
        .value_kind:     by_value
      - .offset:         100
        .size:           4
        .value_kind:     by_value
      - .offset:         104
        .size:           4
        .value_kind:     by_value
      - .offset:         108
        .size:           4
        .value_kind:     by_value
      - .offset:         112
        .size:           4
        .value_kind:     by_value
      - .offset:         116
        .size:           4
        .value_kind:     by_value
      - .offset:         120
        .size:           4
        .value_kind:     by_value
      - .offset:         124
        .size:           4
        .value_kind:     by_value
      - .offset:         128
        .size:           4
        .value_kind:     by_value
      - .offset:         132
        .size:           4
        .value_kind:     by_value
      - .offset:         136
        .size:           4
        .value_kind:     by_value
      - .address_space:  global
        .offset:         144
        .size:           8
        .value_kind:     global_buffer
      - .address_space:  global
        .offset:         152
        .size:           8
        .value_kind:     global_buffer
      - .address_space:  global
        .offset:         160
        .size:           8
        .value_kind:     global_buffer
      - .address_space:  global
        .offset:         168
        .size:           8
        .value_kind:     global_buffer
      - .address_space:  global
        .offset:         176
        .size:           8
        .value_kind:     global_buffer
      - .address_space:  global
        .offset:         184
        .size:           8
        .value_kind:     global_buffer
      - .address_space:  global
        .offset:         192
        .size:           8
        .value_kind:     global_buffer
      - .offset:         200
        .size:           4
        .value_kind:     hidden_block_count_x
      - .offset:         204
        .size:           4
        .value_kind:     hidden_block_count_y
      - .offset:         208
        .size:           4
        .value_kind:     hidden_block_count_z
      - .offset:         212
        .size:           2
        .value_kind:     hidden_group_size_x
      - .offset:         214
        .size:           2
        .value_kind:     hidden_group_size_y
      - .offset:         216
        .size:           2
        .value_kind:     hidden_group_size_z
      - .offset:         218
        .size:           2
        .value_kind:     hidden_remainder_x
      - .offset:         220
        .size:           2
        .value_kind:     hidden_remainder_y
      - .offset:         222
        .size:           2
        .value_kind:     hidden_remainder_z
      - .offset:         240
        .size:           8
        .value_kind:     hidden_global_offset_x
      - .offset:         248
        .size:           8
        .value_kind:     hidden_global_offset_y
      - .offset:         256
        .size:           8
        .value_kind:     hidden_global_offset_z
      - .offset:         264
        .size:           2
        .value_kind:     hidden_grid_dims
    .group_segment_fixed_size: 0
    .kernarg_segment_align: 8
    .kernarg_segment_size: 456
    .language:       OpenCL C
    .language_version:
      - 2
      - 0
    .max_flat_workgroup_size: 1024
    .name:           _ZL11k_bin_bcastIXadL_ZL6op_mulffEE6__halffS0_JPKfS2_S2_S2_S2_S2_S2_EEvPKT0_PKT1_PT2_iii15HIP_vector_typeIjLj3EESC_SC_SC_SC_iiiiiiiiiiiDpT3_
    .private_segment_fixed_size: 0
    .sgpr_count:     46
    .sgpr_spill_count: 0
    .symbol:         _ZL11k_bin_bcastIXadL_ZL6op_mulffEE6__halffS0_JPKfS2_S2_S2_S2_S2_S2_EEvPKT0_PKT1_PT2_iii15HIP_vector_typeIjLj3EESC_SC_SC_SC_iiiiiiiiiiiDpT3_.kd
    .uniform_work_group_size: 1
    .uses_dynamic_stack: false
    .vgpr_count:     18
    .vgpr_spill_count: 0
    .wavefront_size: 32
    .workgroup_processor_mode: 1
  - .args:
      - .address_space:  global
        .offset:         0
        .size:           8
        .value_kind:     global_buffer
      - .address_space:  global
        .offset:         8
        .size:           8
        .value_kind:     global_buffer
      - .address_space:  global
        .offset:         16
        .size:           8
        .value_kind:     global_buffer
      - .offset:         24
        .size:           12
        .value_kind:     by_value
      - .offset:         36
        .size:           12
        .value_kind:     by_value
      - .offset:         48
        .size:           12
        .value_kind:     by_value
      - .offset:         60
        .size:           4
        .value_kind:     by_value
      - .offset:         64
        .size:           12
        .value_kind:     by_value
      - .offset:         76
        .size:           12
        .value_kind:     by_value
      - .offset:         88
        .size:           12
        .value_kind:     by_value
      - .offset:         100
        .size:           12
        .value_kind:     by_value
      - .offset:         112
        .size:           12
        .value_kind:     by_value
      - .offset:         124
        .size:           12
        .value_kind:     by_value
      - .offset:         136
        .size:           4
        .value_kind:     by_value
      - .offset:         140
        .size:           4
        .value_kind:     by_value
      - .offset:         144
        .size:           4
        .value_kind:     by_value
      - .offset:         148
        .size:           4
        .value_kind:     by_value
      - .offset:         152
        .size:           4
        .value_kind:     by_value
      - .offset:         156
        .size:           4
        .value_kind:     by_value
      - .offset:         160
        .size:           4
        .value_kind:     by_value
      - .offset:         164
        .size:           4
        .value_kind:     by_value
      - .offset:         168
        .size:           4
        .value_kind:     by_value
      - .offset:         172
        .size:           4
        .value_kind:     by_value
      - .offset:         176
        .size:           4
        .value_kind:     by_value
      - .address_space:  global
        .offset:         184
        .size:           8
        .value_kind:     global_buffer
      - .address_space:  global
        .offset:         192
        .size:           8
        .value_kind:     global_buffer
      - .address_space:  global
        .offset:         200
        .size:           8
        .value_kind:     global_buffer
      - .address_space:  global
        .offset:         208
        .size:           8
        .value_kind:     global_buffer
      - .address_space:  global
        .offset:         216
        .size:           8
        .value_kind:     global_buffer
      - .address_space:  global
        .offset:         224
        .size:           8
        .value_kind:     global_buffer
      - .address_space:  global
        .offset:         232
        .size:           8
        .value_kind:     global_buffer
      - .offset:         240
        .size:           4
        .value_kind:     hidden_block_count_x
      - .offset:         244
        .size:           4
        .value_kind:     hidden_block_count_y
      - .offset:         248
        .size:           4
        .value_kind:     hidden_block_count_z
      - .offset:         252
        .size:           2
        .value_kind:     hidden_group_size_x
      - .offset:         254
        .size:           2
        .value_kind:     hidden_group_size_y
      - .offset:         256
        .size:           2
        .value_kind:     hidden_group_size_z
      - .offset:         258
        .size:           2
        .value_kind:     hidden_remainder_x
      - .offset:         260
        .size:           2
        .value_kind:     hidden_remainder_y
      - .offset:         262
        .size:           2
        .value_kind:     hidden_remainder_z
      - .offset:         280
        .size:           8
        .value_kind:     hidden_global_offset_x
      - .offset:         288
        .size:           8
        .value_kind:     hidden_global_offset_y
      - .offset:         296
        .size:           8
        .value_kind:     hidden_global_offset_z
      - .offset:         304
        .size:           2
        .value_kind:     hidden_grid_dims
    .group_segment_fixed_size: 0
    .kernarg_segment_align: 8
    .kernarg_segment_size: 496
    .language:       OpenCL C
    .language_version:
      - 2
      - 0
    .max_flat_workgroup_size: 1024
    .name:           _ZL19k_bin_bcast_unravelIXadL_ZL6op_mulffEE6__halfffJPKfS2_S2_S2_S2_S2_S2_EEvPKT0_PKT1_PT2_15HIP_vector_typeIjLj3EESC_SC_jSC_SC_SC_SC_SC_SC_iiiiiiiiiiiDpT3_
    .private_segment_fixed_size: 0
    .sgpr_count:     30
    .sgpr_spill_count: 0
    .symbol:         _ZL19k_bin_bcast_unravelIXadL_ZL6op_mulffEE6__halfffJPKfS2_S2_S2_S2_S2_S2_EEvPKT0_PKT1_PT2_15HIP_vector_typeIjLj3EESC_SC_jSC_SC_SC_SC_SC_SC_iiiiiiiiiiiDpT3_.kd
    .uniform_work_group_size: 1
    .uses_dynamic_stack: false
    .vgpr_count:     15
    .vgpr_spill_count: 0
    .wavefront_size: 32
    .workgroup_processor_mode: 1
  - .args:
      - .address_space:  global
        .offset:         0
        .size:           8
        .value_kind:     global_buffer
      - .address_space:  global
        .offset:         8
        .size:           8
        .value_kind:     global_buffer
      - .address_space:  global
        .offset:         16
        .size:           8
        .value_kind:     global_buffer
      - .offset:         24
        .size:           4
        .value_kind:     by_value
      - .offset:         28
        .size:           4
        .value_kind:     by_value
      - .offset:         32
        .size:           4
        .value_kind:     by_value
      - .offset:         36
        .size:           12
        .value_kind:     by_value
      - .offset:         48
        .size:           12
        .value_kind:     by_value
      - .offset:         60
        .size:           12
        .value_kind:     by_value
      - .offset:         72
        .size:           12
        .value_kind:     by_value
      - .offset:         84
        .size:           12
        .value_kind:     by_value
      - .offset:         96
        .size:           4
        .value_kind:     by_value
      - .offset:         100
        .size:           4
        .value_kind:     by_value
      - .offset:         104
        .size:           4
        .value_kind:     by_value
      - .offset:         108
        .size:           4
        .value_kind:     by_value
      - .offset:         112
        .size:           4
        .value_kind:     by_value
      - .offset:         116
        .size:           4
        .value_kind:     by_value
      - .offset:         120
        .size:           4
        .value_kind:     by_value
      - .offset:         124
        .size:           4
        .value_kind:     by_value
      - .offset:         128
        .size:           4
        .value_kind:     by_value
      - .offset:         132
        .size:           4
        .value_kind:     by_value
      - .offset:         136
        .size:           4
        .value_kind:     by_value
      - .address_space:  global
        .offset:         144
        .size:           8
        .value_kind:     global_buffer
      - .address_space:  global
        .offset:         152
        .size:           8
        .value_kind:     global_buffer
      - .address_space:  global
        .offset:         160
        .size:           8
        .value_kind:     global_buffer
      - .address_space:  global
        .offset:         168
        .size:           8
        .value_kind:     global_buffer
      - .address_space:  global
        .offset:         176
        .size:           8
        .value_kind:     global_buffer
      - .address_space:  global
        .offset:         184
        .size:           8
        .value_kind:     global_buffer
      - .address_space:  global
        .offset:         192
        .size:           8
        .value_kind:     global_buffer
      - .offset:         200
        .size:           4
        .value_kind:     hidden_block_count_x
      - .offset:         204
        .size:           4
        .value_kind:     hidden_block_count_y
      - .offset:         208
        .size:           4
        .value_kind:     hidden_block_count_z
      - .offset:         212
        .size:           2
        .value_kind:     hidden_group_size_x
      - .offset:         214
        .size:           2
        .value_kind:     hidden_group_size_y
      - .offset:         216
        .size:           2
        .value_kind:     hidden_group_size_z
      - .offset:         218
        .size:           2
        .value_kind:     hidden_remainder_x
      - .offset:         220
        .size:           2
        .value_kind:     hidden_remainder_y
      - .offset:         222
        .size:           2
        .value_kind:     hidden_remainder_z
      - .offset:         240
        .size:           8
        .value_kind:     hidden_global_offset_x
      - .offset:         248
        .size:           8
        .value_kind:     hidden_global_offset_y
      - .offset:         256
        .size:           8
        .value_kind:     hidden_global_offset_z
      - .offset:         264
        .size:           2
        .value_kind:     hidden_grid_dims
    .group_segment_fixed_size: 0
    .kernarg_segment_align: 8
    .kernarg_segment_size: 456
    .language:       OpenCL C
    .language_version:
      - 2
      - 0
    .max_flat_workgroup_size: 1024
    .name:           _ZL11k_bin_bcastIXadL_ZL6op_mulffEE6__halfffJPKfS2_S2_S2_S2_S2_S2_EEvPKT0_PKT1_PT2_iii15HIP_vector_typeIjLj3EESC_SC_SC_SC_iiiiiiiiiiiDpT3_
    .private_segment_fixed_size: 0
    .sgpr_count:     46
    .sgpr_spill_count: 0
    .symbol:         _ZL11k_bin_bcastIXadL_ZL6op_mulffEE6__halfffJPKfS2_S2_S2_S2_S2_S2_EEvPKT0_PKT1_PT2_iii15HIP_vector_typeIjLj3EESC_SC_SC_SC_iiiiiiiiiiiDpT3_.kd
    .uniform_work_group_size: 1
    .uses_dynamic_stack: false
    .vgpr_count:     18
    .vgpr_spill_count: 0
    .wavefront_size: 32
    .workgroup_processor_mode: 1
  - .args:
      - .address_space:  global
        .offset:         0
        .size:           8
        .value_kind:     global_buffer
      - .address_space:  global
        .offset:         8
        .size:           8
        .value_kind:     global_buffer
      - .address_space:  global
        .offset:         16
        .size:           8
        .value_kind:     global_buffer
      - .offset:         24
        .size:           12
        .value_kind:     by_value
      - .offset:         36
        .size:           12
        .value_kind:     by_value
      - .offset:         48
        .size:           12
        .value_kind:     by_value
      - .offset:         60
        .size:           4
        .value_kind:     by_value
      - .offset:         64
        .size:           12
        .value_kind:     by_value
      - .offset:         76
        .size:           12
        .value_kind:     by_value
      - .offset:         88
        .size:           12
        .value_kind:     by_value
      - .offset:         100
        .size:           12
        .value_kind:     by_value
      - .offset:         112
        .size:           12
        .value_kind:     by_value
      - .offset:         124
        .size:           12
        .value_kind:     by_value
      - .offset:         136
        .size:           4
        .value_kind:     by_value
      - .offset:         140
        .size:           4
        .value_kind:     by_value
      - .offset:         144
        .size:           4
        .value_kind:     by_value
      - .offset:         148
        .size:           4
        .value_kind:     by_value
      - .offset:         152
        .size:           4
        .value_kind:     by_value
      - .offset:         156
        .size:           4
        .value_kind:     by_value
      - .offset:         160
        .size:           4
        .value_kind:     by_value
      - .offset:         164
        .size:           4
        .value_kind:     by_value
      - .offset:         168
        .size:           4
        .value_kind:     by_value
      - .offset:         172
        .size:           4
        .value_kind:     by_value
      - .offset:         176
        .size:           4
        .value_kind:     by_value
      - .address_space:  global
        .offset:         184
        .size:           8
        .value_kind:     global_buffer
      - .address_space:  global
        .offset:         192
        .size:           8
        .value_kind:     global_buffer
      - .address_space:  global
        .offset:         200
        .size:           8
        .value_kind:     global_buffer
      - .address_space:  global
        .offset:         208
        .size:           8
        .value_kind:     global_buffer
      - .address_space:  global
        .offset:         216
        .size:           8
        .value_kind:     global_buffer
      - .address_space:  global
        .offset:         224
        .size:           8
        .value_kind:     global_buffer
      - .address_space:  global
        .offset:         232
        .size:           8
        .value_kind:     global_buffer
      - .address_space:  global
        .offset:         240
        .size:           8
        .value_kind:     global_buffer
      - .offset:         248
        .size:           4
        .value_kind:     hidden_block_count_x
      - .offset:         252
        .size:           4
        .value_kind:     hidden_block_count_y
      - .offset:         256
        .size:           4
        .value_kind:     hidden_block_count_z
      - .offset:         260
        .size:           2
        .value_kind:     hidden_group_size_x
      - .offset:         262
        .size:           2
        .value_kind:     hidden_group_size_y
      - .offset:         264
        .size:           2
        .value_kind:     hidden_group_size_z
      - .offset:         266
        .size:           2
        .value_kind:     hidden_remainder_x
      - .offset:         268
        .size:           2
        .value_kind:     hidden_remainder_y
      - .offset:         270
        .size:           2
        .value_kind:     hidden_remainder_z
      - .offset:         288
        .size:           8
        .value_kind:     hidden_global_offset_x
      - .offset:         296
        .size:           8
        .value_kind:     hidden_global_offset_y
      - .offset:         304
        .size:           8
        .value_kind:     hidden_global_offset_z
      - .offset:         312
        .size:           2
        .value_kind:     hidden_grid_dims
    .group_segment_fixed_size: 0
    .kernarg_segment_align: 8
    .kernarg_segment_size: 504
    .language:       OpenCL C
    .language_version:
      - 2
      - 0
    .max_flat_workgroup_size: 1024
    .name:           _ZL19k_bin_bcast_unravelIXadL_ZL6op_mulffEEfffJPKfS1_S1_S1_S1_S1_S1_S1_EEvPKT0_PKT1_PT2_15HIP_vector_typeIjLj3EESB_SB_jSB_SB_SB_SB_SB_SB_iiiiiiiiiiiDpT3_
    .private_segment_fixed_size: 0
    .sgpr_count:     30
    .sgpr_spill_count: 0
    .symbol:         _ZL19k_bin_bcast_unravelIXadL_ZL6op_mulffEEfffJPKfS1_S1_S1_S1_S1_S1_S1_EEvPKT0_PKT1_PT2_15HIP_vector_typeIjLj3EESB_SB_jSB_SB_SB_SB_SB_SB_iiiiiiiiiiiDpT3_.kd
    .uniform_work_group_size: 1
    .uses_dynamic_stack: false
    .vgpr_count:     16
    .vgpr_spill_count: 0
    .wavefront_size: 32
    .workgroup_processor_mode: 1
  - .args:
      - .address_space:  global
        .offset:         0
        .size:           8
        .value_kind:     global_buffer
      - .address_space:  global
        .offset:         8
        .size:           8
        .value_kind:     global_buffer
      - .address_space:  global
        .offset:         16
        .size:           8
        .value_kind:     global_buffer
      - .offset:         24
        .size:           4
        .value_kind:     by_value
      - .offset:         28
        .size:           4
        .value_kind:     by_value
      - .offset:         32
        .size:           4
        .value_kind:     by_value
      - .offset:         36
        .size:           12
        .value_kind:     by_value
      - .offset:         48
        .size:           12
        .value_kind:     by_value
      - .offset:         60
        .size:           12
        .value_kind:     by_value
      - .offset:         72
        .size:           12
        .value_kind:     by_value
      - .offset:         84
        .size:           12
        .value_kind:     by_value
      - .offset:         96
        .size:           4
        .value_kind:     by_value
      - .offset:         100
        .size:           4
        .value_kind:     by_value
      - .offset:         104
        .size:           4
        .value_kind:     by_value
      - .offset:         108
        .size:           4
        .value_kind:     by_value
      - .offset:         112
        .size:           4
        .value_kind:     by_value
      - .offset:         116
        .size:           4
        .value_kind:     by_value
      - .offset:         120
        .size:           4
        .value_kind:     by_value
      - .offset:         124
        .size:           4
        .value_kind:     by_value
      - .offset:         128
        .size:           4
        .value_kind:     by_value
      - .offset:         132
        .size:           4
        .value_kind:     by_value
      - .offset:         136
        .size:           4
        .value_kind:     by_value
      - .address_space:  global
        .offset:         144
        .size:           8
        .value_kind:     global_buffer
      - .address_space:  global
        .offset:         152
        .size:           8
        .value_kind:     global_buffer
      - .address_space:  global
        .offset:         160
        .size:           8
        .value_kind:     global_buffer
      - .address_space:  global
        .offset:         168
        .size:           8
        .value_kind:     global_buffer
      - .address_space:  global
        .offset:         176
        .size:           8
        .value_kind:     global_buffer
      - .address_space:  global
        .offset:         184
        .size:           8
        .value_kind:     global_buffer
      - .address_space:  global
        .offset:         192
        .size:           8
        .value_kind:     global_buffer
      - .address_space:  global
        .offset:         200
        .size:           8
        .value_kind:     global_buffer
      - .offset:         208
        .size:           4
        .value_kind:     hidden_block_count_x
      - .offset:         212
        .size:           4
        .value_kind:     hidden_block_count_y
      - .offset:         216
        .size:           4
        .value_kind:     hidden_block_count_z
      - .offset:         220
        .size:           2
        .value_kind:     hidden_group_size_x
      - .offset:         222
        .size:           2
        .value_kind:     hidden_group_size_y
      - .offset:         224
        .size:           2
        .value_kind:     hidden_group_size_z
      - .offset:         226
        .size:           2
        .value_kind:     hidden_remainder_x
      - .offset:         228
        .size:           2
        .value_kind:     hidden_remainder_y
      - .offset:         230
        .size:           2
        .value_kind:     hidden_remainder_z
      - .offset:         248
        .size:           8
        .value_kind:     hidden_global_offset_x
      - .offset:         256
        .size:           8
        .value_kind:     hidden_global_offset_y
      - .offset:         264
        .size:           8
        .value_kind:     hidden_global_offset_z
      - .offset:         272
        .size:           2
        .value_kind:     hidden_grid_dims
    .group_segment_fixed_size: 0
    .kernarg_segment_align: 8
    .kernarg_segment_size: 464
    .language:       OpenCL C
    .language_version:
      - 2
      - 0
    .max_flat_workgroup_size: 1024
    .name:           _ZL11k_bin_bcastIXadL_ZL6op_mulffEEfffJPKfS1_S1_S1_S1_S1_S1_S1_EEvPKT0_PKT1_PT2_iii15HIP_vector_typeIjLj3EESB_SB_SB_SB_iiiiiiiiiiiDpT3_
    .private_segment_fixed_size: 0
    .sgpr_count:     46
    .sgpr_spill_count: 0
    .symbol:         _ZL11k_bin_bcastIXadL_ZL6op_mulffEEfffJPKfS1_S1_S1_S1_S1_S1_S1_EEvPKT0_PKT1_PT2_iii15HIP_vector_typeIjLj3EESB_SB_SB_SB_iiiiiiiiiiiDpT3_.kd
    .uniform_work_group_size: 1
    .uses_dynamic_stack: false
    .vgpr_count:     19
    .vgpr_spill_count: 0
    .wavefront_size: 32
    .workgroup_processor_mode: 1
  - .args:
      - .address_space:  global
        .offset:         0
        .size:           8
        .value_kind:     global_buffer
      - .address_space:  global
        .offset:         8
        .size:           8
        .value_kind:     global_buffer
      - .address_space:  global
        .offset:         16
        .size:           8
        .value_kind:     global_buffer
      - .offset:         24
        .size:           12
        .value_kind:     by_value
      - .offset:         36
        .size:           12
        .value_kind:     by_value
      - .offset:         48
        .size:           12
        .value_kind:     by_value
      - .offset:         60
        .size:           4
        .value_kind:     by_value
      - .offset:         64
        .size:           12
        .value_kind:     by_value
      - .offset:         76
        .size:           12
        .value_kind:     by_value
      - .offset:         88
        .size:           12
        .value_kind:     by_value
      - .offset:         100
        .size:           12
        .value_kind:     by_value
      - .offset:         112
        .size:           12
        .value_kind:     by_value
      - .offset:         124
        .size:           12
        .value_kind:     by_value
      - .offset:         136
        .size:           4
        .value_kind:     by_value
      - .offset:         140
        .size:           4
        .value_kind:     by_value
      - .offset:         144
        .size:           4
        .value_kind:     by_value
      - .offset:         148
        .size:           4
        .value_kind:     by_value
      - .offset:         152
        .size:           4
        .value_kind:     by_value
      - .offset:         156
        .size:           4
        .value_kind:     by_value
      - .offset:         160
        .size:           4
        .value_kind:     by_value
      - .offset:         164
        .size:           4
        .value_kind:     by_value
      - .offset:         168
        .size:           4
        .value_kind:     by_value
      - .offset:         172
        .size:           4
        .value_kind:     by_value
      - .offset:         176
        .size:           4
        .value_kind:     by_value
      - .address_space:  global
        .offset:         184
        .size:           8
        .value_kind:     global_buffer
      - .address_space:  global
        .offset:         192
        .size:           8
        .value_kind:     global_buffer
      - .address_space:  global
        .offset:         200
        .size:           8
        .value_kind:     global_buffer
      - .address_space:  global
        .offset:         208
        .size:           8
        .value_kind:     global_buffer
      - .address_space:  global
        .offset:         216
        .size:           8
        .value_kind:     global_buffer
      - .address_space:  global
        .offset:         224
        .size:           8
        .value_kind:     global_buffer
      - .address_space:  global
        .offset:         232
        .size:           8
        .value_kind:     global_buffer
      - .address_space:  global
        .offset:         240
        .size:           8
        .value_kind:     global_buffer
      - .offset:         248
        .size:           4
        .value_kind:     hidden_block_count_x
      - .offset:         252
        .size:           4
        .value_kind:     hidden_block_count_y
      - .offset:         256
        .size:           4
        .value_kind:     hidden_block_count_z
      - .offset:         260
        .size:           2
        .value_kind:     hidden_group_size_x
      - .offset:         262
        .size:           2
        .value_kind:     hidden_group_size_y
      - .offset:         264
        .size:           2
        .value_kind:     hidden_group_size_z
      - .offset:         266
        .size:           2
        .value_kind:     hidden_remainder_x
      - .offset:         268
        .size:           2
        .value_kind:     hidden_remainder_y
      - .offset:         270
        .size:           2
        .value_kind:     hidden_remainder_z
      - .offset:         288
        .size:           8
        .value_kind:     hidden_global_offset_x
      - .offset:         296
        .size:           8
        .value_kind:     hidden_global_offset_y
      - .offset:         304
        .size:           8
        .value_kind:     hidden_global_offset_z
      - .offset:         312
        .size:           2
        .value_kind:     hidden_grid_dims
    .group_segment_fixed_size: 0
    .kernarg_segment_align: 8
    .kernarg_segment_size: 504
    .language:       OpenCL C
    .language_version:
      - 2
      - 0
    .max_flat_workgroup_size: 1024
    .name:           _ZL19k_bin_bcast_unravelIXadL_ZL6op_mulffEE6__halfS0_S0_JPKS0_S2_S2_S2_S2_S2_S2_S2_EEvPKT0_PKT1_PT2_15HIP_vector_typeIjLj3EESC_SC_jSC_SC_SC_SC_SC_SC_iiiiiiiiiiiDpT3_
    .private_segment_fixed_size: 0
    .sgpr_count:     30
    .sgpr_spill_count: 0
    .symbol:         _ZL19k_bin_bcast_unravelIXadL_ZL6op_mulffEE6__halfS0_S0_JPKS0_S2_S2_S2_S2_S2_S2_S2_EEvPKT0_PKT1_PT2_15HIP_vector_typeIjLj3EESC_SC_jSC_SC_SC_SC_SC_SC_iiiiiiiiiiiDpT3_.kd
    .uniform_work_group_size: 1
    .uses_dynamic_stack: false
    .vgpr_count:     16
    .vgpr_spill_count: 0
    .wavefront_size: 32
    .workgroup_processor_mode: 1
  - .args:
      - .address_space:  global
        .offset:         0
        .size:           8
        .value_kind:     global_buffer
      - .address_space:  global
        .offset:         8
        .size:           8
        .value_kind:     global_buffer
      - .address_space:  global
        .offset:         16
        .size:           8
        .value_kind:     global_buffer
      - .offset:         24
        .size:           4
        .value_kind:     by_value
      - .offset:         28
        .size:           4
        .value_kind:     by_value
      - .offset:         32
        .size:           4
        .value_kind:     by_value
      - .offset:         36
        .size:           12
        .value_kind:     by_value
      - .offset:         48
        .size:           12
        .value_kind:     by_value
      - .offset:         60
        .size:           12
        .value_kind:     by_value
      - .offset:         72
        .size:           12
        .value_kind:     by_value
      - .offset:         84
        .size:           12
        .value_kind:     by_value
      - .offset:         96
        .size:           4
        .value_kind:     by_value
      - .offset:         100
        .size:           4
        .value_kind:     by_value
      - .offset:         104
        .size:           4
        .value_kind:     by_value
      - .offset:         108
        .size:           4
        .value_kind:     by_value
      - .offset:         112
        .size:           4
        .value_kind:     by_value
      - .offset:         116
        .size:           4
        .value_kind:     by_value
      - .offset:         120
        .size:           4
        .value_kind:     by_value
      - .offset:         124
        .size:           4
        .value_kind:     by_value
      - .offset:         128
        .size:           4
        .value_kind:     by_value
      - .offset:         132
        .size:           4
        .value_kind:     by_value
      - .offset:         136
        .size:           4
        .value_kind:     by_value
      - .address_space:  global
        .offset:         144
        .size:           8
        .value_kind:     global_buffer
      - .address_space:  global
        .offset:         152
        .size:           8
        .value_kind:     global_buffer
      - .address_space:  global
        .offset:         160
        .size:           8
        .value_kind:     global_buffer
      - .address_space:  global
        .offset:         168
        .size:           8
        .value_kind:     global_buffer
      - .address_space:  global
        .offset:         176
        .size:           8
        .value_kind:     global_buffer
      - .address_space:  global
        .offset:         184
        .size:           8
        .value_kind:     global_buffer
      - .address_space:  global
        .offset:         192
        .size:           8
        .value_kind:     global_buffer
      - .address_space:  global
        .offset:         200
        .size:           8
        .value_kind:     global_buffer
      - .offset:         208
        .size:           4
        .value_kind:     hidden_block_count_x
      - .offset:         212
        .size:           4
        .value_kind:     hidden_block_count_y
      - .offset:         216
        .size:           4
        .value_kind:     hidden_block_count_z
      - .offset:         220
        .size:           2
        .value_kind:     hidden_group_size_x
      - .offset:         222
        .size:           2
        .value_kind:     hidden_group_size_y
      - .offset:         224
        .size:           2
        .value_kind:     hidden_group_size_z
      - .offset:         226
        .size:           2
        .value_kind:     hidden_remainder_x
      - .offset:         228
        .size:           2
        .value_kind:     hidden_remainder_y
      - .offset:         230
        .size:           2
        .value_kind:     hidden_remainder_z
      - .offset:         248
        .size:           8
        .value_kind:     hidden_global_offset_x
      - .offset:         256
        .size:           8
        .value_kind:     hidden_global_offset_y
      - .offset:         264
        .size:           8
        .value_kind:     hidden_global_offset_z
      - .offset:         272
        .size:           2
        .value_kind:     hidden_grid_dims
    .group_segment_fixed_size: 0
    .kernarg_segment_align: 8
    .kernarg_segment_size: 464
    .language:       OpenCL C
    .language_version:
      - 2
      - 0
    .max_flat_workgroup_size: 1024
    .name:           _ZL11k_bin_bcastIXadL_ZL6op_mulffEE6__halfS0_S0_JPKS0_S2_S2_S2_S2_S2_S2_S2_EEvPKT0_PKT1_PT2_iii15HIP_vector_typeIjLj3EESC_SC_SC_SC_iiiiiiiiiiiDpT3_
    .private_segment_fixed_size: 0
    .sgpr_count:     46
    .sgpr_spill_count: 0
    .symbol:         _ZL11k_bin_bcastIXadL_ZL6op_mulffEE6__halfS0_S0_JPKS0_S2_S2_S2_S2_S2_S2_S2_EEvPKT0_PKT1_PT2_iii15HIP_vector_typeIjLj3EESC_SC_SC_SC_iiiiiiiiiiiDpT3_.kd
    .uniform_work_group_size: 1
    .uses_dynamic_stack: false
    .vgpr_count:     19
    .vgpr_spill_count: 0
    .wavefront_size: 32
    .workgroup_processor_mode: 1
  - .args:
      - .address_space:  global
        .offset:         0
        .size:           8
        .value_kind:     global_buffer
      - .address_space:  global
        .offset:         8
        .size:           8
        .value_kind:     global_buffer
      - .address_space:  global
        .offset:         16
        .size:           8
        .value_kind:     global_buffer
      - .offset:         24
        .size:           12
        .value_kind:     by_value
      - .offset:         36
        .size:           12
        .value_kind:     by_value
      - .offset:         48
        .size:           12
        .value_kind:     by_value
      - .offset:         60
        .size:           4
        .value_kind:     by_value
      - .offset:         64
        .size:           12
        .value_kind:     by_value
      - .offset:         76
        .size:           12
        .value_kind:     by_value
      - .offset:         88
        .size:           12
        .value_kind:     by_value
      - .offset:         100
        .size:           12
        .value_kind:     by_value
      - .offset:         112
        .size:           12
        .value_kind:     by_value
      - .offset:         124
        .size:           12
        .value_kind:     by_value
      - .offset:         136
        .size:           4
        .value_kind:     by_value
      - .offset:         140
        .size:           4
        .value_kind:     by_value
      - .offset:         144
        .size:           4
        .value_kind:     by_value
      - .offset:         148
        .size:           4
        .value_kind:     by_value
      - .offset:         152
        .size:           4
        .value_kind:     by_value
      - .offset:         156
        .size:           4
        .value_kind:     by_value
      - .offset:         160
        .size:           4
        .value_kind:     by_value
      - .offset:         164
        .size:           4
        .value_kind:     by_value
      - .offset:         168
        .size:           4
        .value_kind:     by_value
      - .offset:         172
        .size:           4
        .value_kind:     by_value
      - .offset:         176
        .size:           4
        .value_kind:     by_value
      - .address_space:  global
        .offset:         184
        .size:           8
        .value_kind:     global_buffer
      - .address_space:  global
        .offset:         192
        .size:           8
        .value_kind:     global_buffer
      - .address_space:  global
        .offset:         200
        .size:           8
        .value_kind:     global_buffer
      - .address_space:  global
        .offset:         208
        .size:           8
        .value_kind:     global_buffer
      - .address_space:  global
        .offset:         216
        .size:           8
        .value_kind:     global_buffer
      - .address_space:  global
        .offset:         224
        .size:           8
        .value_kind:     global_buffer
      - .address_space:  global
        .offset:         232
        .size:           8
        .value_kind:     global_buffer
      - .address_space:  global
        .offset:         240
        .size:           8
        .value_kind:     global_buffer
      - .offset:         248
        .size:           4
        .value_kind:     hidden_block_count_x
      - .offset:         252
        .size:           4
        .value_kind:     hidden_block_count_y
      - .offset:         256
        .size:           4
        .value_kind:     hidden_block_count_z
      - .offset:         260
        .size:           2
        .value_kind:     hidden_group_size_x
      - .offset:         262
        .size:           2
        .value_kind:     hidden_group_size_y
      - .offset:         264
        .size:           2
        .value_kind:     hidden_group_size_z
      - .offset:         266
        .size:           2
        .value_kind:     hidden_remainder_x
      - .offset:         268
        .size:           2
        .value_kind:     hidden_remainder_y
      - .offset:         270
        .size:           2
        .value_kind:     hidden_remainder_z
      - .offset:         288
        .size:           8
        .value_kind:     hidden_global_offset_x
      - .offset:         296
        .size:           8
        .value_kind:     hidden_global_offset_y
      - .offset:         304
        .size:           8
        .value_kind:     hidden_global_offset_z
      - .offset:         312
        .size:           2
        .value_kind:     hidden_grid_dims
    .group_segment_fixed_size: 0
    .kernarg_segment_align: 8
    .kernarg_segment_size: 504
    .language:       OpenCL C
    .language_version:
      - 2
      - 0
    .max_flat_workgroup_size: 1024
    .name:           _ZL19k_bin_bcast_unravelIXadL_ZL6op_mulffEE6__halffS0_JPKfS2_S2_S2_S2_S2_S2_S2_EEvPKT0_PKT1_PT2_15HIP_vector_typeIjLj3EESC_SC_jSC_SC_SC_SC_SC_SC_iiiiiiiiiiiDpT3_
    .private_segment_fixed_size: 0
    .sgpr_count:     30
    .sgpr_spill_count: 0
    .symbol:         _ZL19k_bin_bcast_unravelIXadL_ZL6op_mulffEE6__halffS0_JPKfS2_S2_S2_S2_S2_S2_S2_EEvPKT0_PKT1_PT2_15HIP_vector_typeIjLj3EESC_SC_jSC_SC_SC_SC_SC_SC_iiiiiiiiiiiDpT3_.kd
    .uniform_work_group_size: 1
    .uses_dynamic_stack: false
    .vgpr_count:     16
    .vgpr_spill_count: 0
    .wavefront_size: 32
    .workgroup_processor_mode: 1
  - .args:
      - .address_space:  global
        .offset:         0
        .size:           8
        .value_kind:     global_buffer
      - .address_space:  global
        .offset:         8
        .size:           8
        .value_kind:     global_buffer
      - .address_space:  global
        .offset:         16
        .size:           8
        .value_kind:     global_buffer
      - .offset:         24
        .size:           4
        .value_kind:     by_value
      - .offset:         28
        .size:           4
        .value_kind:     by_value
      - .offset:         32
        .size:           4
        .value_kind:     by_value
      - .offset:         36
        .size:           12
        .value_kind:     by_value
      - .offset:         48
        .size:           12
        .value_kind:     by_value
      - .offset:         60
        .size:           12
        .value_kind:     by_value
      - .offset:         72
        .size:           12
        .value_kind:     by_value
      - .offset:         84
        .size:           12
        .value_kind:     by_value
      - .offset:         96
        .size:           4
        .value_kind:     by_value
      - .offset:         100
        .size:           4
        .value_kind:     by_value
      - .offset:         104
        .size:           4
        .value_kind:     by_value
      - .offset:         108
        .size:           4
        .value_kind:     by_value
      - .offset:         112
        .size:           4
        .value_kind:     by_value
      - .offset:         116
        .size:           4
        .value_kind:     by_value
      - .offset:         120
        .size:           4
        .value_kind:     by_value
      - .offset:         124
        .size:           4
        .value_kind:     by_value
      - .offset:         128
        .size:           4
        .value_kind:     by_value
      - .offset:         132
        .size:           4
        .value_kind:     by_value
      - .offset:         136
        .size:           4
        .value_kind:     by_value
      - .address_space:  global
        .offset:         144
        .size:           8
        .value_kind:     global_buffer
      - .address_space:  global
        .offset:         152
        .size:           8
        .value_kind:     global_buffer
      - .address_space:  global
        .offset:         160
        .size:           8
        .value_kind:     global_buffer
      - .address_space:  global
        .offset:         168
        .size:           8
        .value_kind:     global_buffer
      - .address_space:  global
        .offset:         176
        .size:           8
        .value_kind:     global_buffer
      - .address_space:  global
        .offset:         184
        .size:           8
        .value_kind:     global_buffer
      - .address_space:  global
        .offset:         192
        .size:           8
        .value_kind:     global_buffer
      - .address_space:  global
        .offset:         200
        .size:           8
        .value_kind:     global_buffer
      - .offset:         208
        .size:           4
        .value_kind:     hidden_block_count_x
      - .offset:         212
        .size:           4
        .value_kind:     hidden_block_count_y
      - .offset:         216
        .size:           4
        .value_kind:     hidden_block_count_z
      - .offset:         220
        .size:           2
        .value_kind:     hidden_group_size_x
      - .offset:         222
        .size:           2
        .value_kind:     hidden_group_size_y
      - .offset:         224
        .size:           2
        .value_kind:     hidden_group_size_z
      - .offset:         226
        .size:           2
        .value_kind:     hidden_remainder_x
      - .offset:         228
        .size:           2
        .value_kind:     hidden_remainder_y
      - .offset:         230
        .size:           2
        .value_kind:     hidden_remainder_z
      - .offset:         248
        .size:           8
        .value_kind:     hidden_global_offset_x
      - .offset:         256
        .size:           8
        .value_kind:     hidden_global_offset_y
      - .offset:         264
        .size:           8
        .value_kind:     hidden_global_offset_z
      - .offset:         272
        .size:           2
        .value_kind:     hidden_grid_dims
    .group_segment_fixed_size: 0
    .kernarg_segment_align: 8
    .kernarg_segment_size: 464
    .language:       OpenCL C
    .language_version:
      - 2
      - 0
    .max_flat_workgroup_size: 1024
    .name:           _ZL11k_bin_bcastIXadL_ZL6op_mulffEE6__halffS0_JPKfS2_S2_S2_S2_S2_S2_S2_EEvPKT0_PKT1_PT2_iii15HIP_vector_typeIjLj3EESC_SC_SC_SC_iiiiiiiiiiiDpT3_
    .private_segment_fixed_size: 0
    .sgpr_count:     46
    .sgpr_spill_count: 0
    .symbol:         _ZL11k_bin_bcastIXadL_ZL6op_mulffEE6__halffS0_JPKfS2_S2_S2_S2_S2_S2_S2_EEvPKT0_PKT1_PT2_iii15HIP_vector_typeIjLj3EESC_SC_SC_SC_iiiiiiiiiiiDpT3_.kd
    .uniform_work_group_size: 1
    .uses_dynamic_stack: false
    .vgpr_count:     19
    .vgpr_spill_count: 0
    .wavefront_size: 32
    .workgroup_processor_mode: 1
  - .args:
      - .address_space:  global
        .offset:         0
        .size:           8
        .value_kind:     global_buffer
      - .address_space:  global
        .offset:         8
        .size:           8
        .value_kind:     global_buffer
      - .address_space:  global
        .offset:         16
        .size:           8
        .value_kind:     global_buffer
      - .offset:         24
        .size:           12
        .value_kind:     by_value
      - .offset:         36
        .size:           12
        .value_kind:     by_value
      - .offset:         48
        .size:           12
        .value_kind:     by_value
      - .offset:         60
        .size:           4
        .value_kind:     by_value
      - .offset:         64
        .size:           12
        .value_kind:     by_value
      - .offset:         76
        .size:           12
        .value_kind:     by_value
      - .offset:         88
        .size:           12
        .value_kind:     by_value
      - .offset:         100
        .size:           12
        .value_kind:     by_value
      - .offset:         112
        .size:           12
        .value_kind:     by_value
      - .offset:         124
        .size:           12
        .value_kind:     by_value
      - .offset:         136
        .size:           4
        .value_kind:     by_value
      - .offset:         140
        .size:           4
        .value_kind:     by_value
      - .offset:         144
        .size:           4
        .value_kind:     by_value
      - .offset:         148
        .size:           4
        .value_kind:     by_value
      - .offset:         152
        .size:           4
        .value_kind:     by_value
      - .offset:         156
        .size:           4
        .value_kind:     by_value
      - .offset:         160
        .size:           4
        .value_kind:     by_value
      - .offset:         164
        .size:           4
        .value_kind:     by_value
      - .offset:         168
        .size:           4
        .value_kind:     by_value
      - .offset:         172
        .size:           4
        .value_kind:     by_value
      - .offset:         176
        .size:           4
        .value_kind:     by_value
      - .address_space:  global
        .offset:         184
        .size:           8
        .value_kind:     global_buffer
      - .address_space:  global
        .offset:         192
        .size:           8
        .value_kind:     global_buffer
      - .address_space:  global
        .offset:         200
        .size:           8
        .value_kind:     global_buffer
      - .address_space:  global
        .offset:         208
        .size:           8
        .value_kind:     global_buffer
      - .address_space:  global
        .offset:         216
        .size:           8
        .value_kind:     global_buffer
      - .address_space:  global
        .offset:         224
        .size:           8
        .value_kind:     global_buffer
      - .address_space:  global
        .offset:         232
        .size:           8
        .value_kind:     global_buffer
      - .address_space:  global
        .offset:         240
        .size:           8
        .value_kind:     global_buffer
      - .offset:         248
        .size:           4
        .value_kind:     hidden_block_count_x
      - .offset:         252
        .size:           4
        .value_kind:     hidden_block_count_y
      - .offset:         256
        .size:           4
        .value_kind:     hidden_block_count_z
      - .offset:         260
        .size:           2
        .value_kind:     hidden_group_size_x
      - .offset:         262
        .size:           2
        .value_kind:     hidden_group_size_y
      - .offset:         264
        .size:           2
        .value_kind:     hidden_group_size_z
      - .offset:         266
        .size:           2
        .value_kind:     hidden_remainder_x
      - .offset:         268
        .size:           2
        .value_kind:     hidden_remainder_y
      - .offset:         270
        .size:           2
        .value_kind:     hidden_remainder_z
      - .offset:         288
        .size:           8
        .value_kind:     hidden_global_offset_x
      - .offset:         296
        .size:           8
        .value_kind:     hidden_global_offset_y
      - .offset:         304
        .size:           8
        .value_kind:     hidden_global_offset_z
      - .offset:         312
        .size:           2
        .value_kind:     hidden_grid_dims
    .group_segment_fixed_size: 0
    .kernarg_segment_align: 8
    .kernarg_segment_size: 504
    .language:       OpenCL C
    .language_version:
      - 2
      - 0
    .max_flat_workgroup_size: 1024
    .name:           _ZL19k_bin_bcast_unravelIXadL_ZL6op_mulffEE6__halfffJPKfS2_S2_S2_S2_S2_S2_S2_EEvPKT0_PKT1_PT2_15HIP_vector_typeIjLj3EESC_SC_jSC_SC_SC_SC_SC_SC_iiiiiiiiiiiDpT3_
    .private_segment_fixed_size: 0
    .sgpr_count:     30
    .sgpr_spill_count: 0
    .symbol:         _ZL19k_bin_bcast_unravelIXadL_ZL6op_mulffEE6__halfffJPKfS2_S2_S2_S2_S2_S2_S2_EEvPKT0_PKT1_PT2_15HIP_vector_typeIjLj3EESC_SC_jSC_SC_SC_SC_SC_SC_iiiiiiiiiiiDpT3_.kd
    .uniform_work_group_size: 1
    .uses_dynamic_stack: false
    .vgpr_count:     16
    .vgpr_spill_count: 0
    .wavefront_size: 32
    .workgroup_processor_mode: 1
  - .args:
      - .address_space:  global
        .offset:         0
        .size:           8
        .value_kind:     global_buffer
      - .address_space:  global
        .offset:         8
        .size:           8
        .value_kind:     global_buffer
      - .address_space:  global
        .offset:         16
        .size:           8
        .value_kind:     global_buffer
      - .offset:         24
        .size:           4
        .value_kind:     by_value
      - .offset:         28
        .size:           4
        .value_kind:     by_value
      - .offset:         32
        .size:           4
        .value_kind:     by_value
      - .offset:         36
        .size:           12
        .value_kind:     by_value
      - .offset:         48
        .size:           12
        .value_kind:     by_value
      - .offset:         60
        .size:           12
        .value_kind:     by_value
      - .offset:         72
        .size:           12
        .value_kind:     by_value
      - .offset:         84
        .size:           12
        .value_kind:     by_value
      - .offset:         96
        .size:           4
        .value_kind:     by_value
      - .offset:         100
        .size:           4
        .value_kind:     by_value
      - .offset:         104
        .size:           4
        .value_kind:     by_value
      - .offset:         108
        .size:           4
        .value_kind:     by_value
      - .offset:         112
        .size:           4
        .value_kind:     by_value
      - .offset:         116
        .size:           4
        .value_kind:     by_value
      - .offset:         120
        .size:           4
        .value_kind:     by_value
      - .offset:         124
        .size:           4
        .value_kind:     by_value
      - .offset:         128
        .size:           4
        .value_kind:     by_value
      - .offset:         132
        .size:           4
        .value_kind:     by_value
      - .offset:         136
        .size:           4
        .value_kind:     by_value
      - .address_space:  global
        .offset:         144
        .size:           8
        .value_kind:     global_buffer
      - .address_space:  global
        .offset:         152
        .size:           8
        .value_kind:     global_buffer
      - .address_space:  global
        .offset:         160
        .size:           8
        .value_kind:     global_buffer
      - .address_space:  global
        .offset:         168
        .size:           8
        .value_kind:     global_buffer
      - .address_space:  global
        .offset:         176
        .size:           8
        .value_kind:     global_buffer
      - .address_space:  global
        .offset:         184
        .size:           8
        .value_kind:     global_buffer
      - .address_space:  global
        .offset:         192
        .size:           8
        .value_kind:     global_buffer
      - .address_space:  global
        .offset:         200
        .size:           8
        .value_kind:     global_buffer
      - .offset:         208
        .size:           4
        .value_kind:     hidden_block_count_x
      - .offset:         212
        .size:           4
        .value_kind:     hidden_block_count_y
      - .offset:         216
        .size:           4
        .value_kind:     hidden_block_count_z
      - .offset:         220
        .size:           2
        .value_kind:     hidden_group_size_x
      - .offset:         222
        .size:           2
        .value_kind:     hidden_group_size_y
      - .offset:         224
        .size:           2
        .value_kind:     hidden_group_size_z
      - .offset:         226
        .size:           2
        .value_kind:     hidden_remainder_x
      - .offset:         228
        .size:           2
        .value_kind:     hidden_remainder_y
      - .offset:         230
        .size:           2
        .value_kind:     hidden_remainder_z
      - .offset:         248
        .size:           8
        .value_kind:     hidden_global_offset_x
      - .offset:         256
        .size:           8
        .value_kind:     hidden_global_offset_y
      - .offset:         264
        .size:           8
        .value_kind:     hidden_global_offset_z
      - .offset:         272
        .size:           2
        .value_kind:     hidden_grid_dims
    .group_segment_fixed_size: 0
    .kernarg_segment_align: 8
    .kernarg_segment_size: 464
    .language:       OpenCL C
    .language_version:
      - 2
      - 0
    .max_flat_workgroup_size: 1024
    .name:           _ZL11k_bin_bcastIXadL_ZL6op_mulffEE6__halfffJPKfS2_S2_S2_S2_S2_S2_S2_EEvPKT0_PKT1_PT2_iii15HIP_vector_typeIjLj3EESC_SC_SC_SC_iiiiiiiiiiiDpT3_
    .private_segment_fixed_size: 0
    .sgpr_count:     46
    .sgpr_spill_count: 0
    .symbol:         _ZL11k_bin_bcastIXadL_ZL6op_mulffEE6__halfffJPKfS2_S2_S2_S2_S2_S2_S2_EEvPKT0_PKT1_PT2_iii15HIP_vector_typeIjLj3EESC_SC_SC_SC_iiiiiiiiiiiDpT3_.kd
    .uniform_work_group_size: 1
    .uses_dynamic_stack: false
    .vgpr_count:     19
    .vgpr_spill_count: 0
    .wavefront_size: 32
    .workgroup_processor_mode: 1
  - .args:
      - .actual_access:  read_only
        .address_space:  global
        .offset:         0
        .size:           8
        .value_kind:     global_buffer
      - .actual_access:  write_only
        .address_space:  global
        .offset:         8
        .size:           8
        .value_kind:     global_buffer
      - .offset:         16
        .size:           8
        .value_kind:     by_value
      - .offset:         24
        .size:           8
        .value_kind:     by_value
      - .offset:         32
        .size:           8
        .value_kind:     by_value
      - .offset:         40
        .size:           8
        .value_kind:     by_value
      - .offset:         48
        .size:           8
        .value_kind:     by_value
      - .offset:         56
        .size:           8
        .value_kind:     by_value
      - .offset:         64
        .size:           8
        .value_kind:     by_value
      - .offset:         72
        .size:           8
        .value_kind:     by_value
      - .offset:         80
        .size:           8
        .value_kind:     by_value
      - .offset:         88
        .size:           8
        .value_kind:     by_value
      - .offset:         96
        .size:           8
        .value_kind:     by_value
      - .offset:         104
        .size:           8
        .value_kind:     by_value
      - .offset:         112
        .size:           4
        .value_kind:     hidden_block_count_x
      - .offset:         116
        .size:           4
        .value_kind:     hidden_block_count_y
      - .offset:         120
        .size:           4
        .value_kind:     hidden_block_count_z
      - .offset:         124
        .size:           2
        .value_kind:     hidden_group_size_x
      - .offset:         126
        .size:           2
        .value_kind:     hidden_group_size_y
      - .offset:         128
        .size:           2
        .value_kind:     hidden_group_size_z
      - .offset:         130
        .size:           2
        .value_kind:     hidden_remainder_x
      - .offset:         132
        .size:           2
        .value_kind:     hidden_remainder_y
      - .offset:         134
        .size:           2
        .value_kind:     hidden_remainder_z
      - .offset:         152
        .size:           8
        .value_kind:     hidden_global_offset_x
      - .offset:         160
        .size:           8
        .value_kind:     hidden_global_offset_y
      - .offset:         168
        .size:           8
        .value_kind:     hidden_global_offset_z
      - .offset:         176
        .size:           2
        .value_kind:     hidden_grid_dims
    .group_segment_fixed_size: 0
    .kernarg_segment_align: 8
    .kernarg_segment_size: 368
    .language:       OpenCL C
    .language_version:
      - 2
      - 0
    .max_flat_workgroup_size: 1024
    .name:           _ZL13k_repeat_backIfEvPKT_PS0_llllmmmmllll
    .private_segment_fixed_size: 0
    .sgpr_count:     41
    .sgpr_spill_count: 0
    .symbol:         _ZL13k_repeat_backIfEvPKT_PS0_llllmmmmllll.kd
    .uniform_work_group_size: 1
    .uses_dynamic_stack: false
    .vgpr_count:     26
    .vgpr_spill_count: 0
    .wavefront_size: 32
    .workgroup_processor_mode: 1
amdhsa.target:   amdgcn-amd-amdhsa--gfx1100
amdhsa.version:
  - 1
  - 2
...

	.end_amdgpu_metadata
